;; amdgpu-corpus repo=ROCm/rocFFT kind=compiled arch=gfx950 opt=O3
	.text
	.amdgcn_target "amdgcn-amd-amdhsa--gfx950"
	.amdhsa_code_object_version 6
	.protected	fft_rtc_fwd_len1960_factors_4_7_2_7_5_wgs_56_tpt_56_halfLds_sp_ip_CI_unitstride_sbrr_R2C_dirReg ; -- Begin function fft_rtc_fwd_len1960_factors_4_7_2_7_5_wgs_56_tpt_56_halfLds_sp_ip_CI_unitstride_sbrr_R2C_dirReg
	.globl	fft_rtc_fwd_len1960_factors_4_7_2_7_5_wgs_56_tpt_56_halfLds_sp_ip_CI_unitstride_sbrr_R2C_dirReg
	.p2align	8
	.type	fft_rtc_fwd_len1960_factors_4_7_2_7_5_wgs_56_tpt_56_halfLds_sp_ip_CI_unitstride_sbrr_R2C_dirReg,@function
fft_rtc_fwd_len1960_factors_4_7_2_7_5_wgs_56_tpt_56_halfLds_sp_ip_CI_unitstride_sbrr_R2C_dirReg: ; @fft_rtc_fwd_len1960_factors_4_7_2_7_5_wgs_56_tpt_56_halfLds_sp_ip_CI_unitstride_sbrr_R2C_dirReg
; %bb.0:
	s_load_dwordx2 s[8:9], s[0:1], 0x50
	s_load_dwordx4 s[4:7], s[0:1], 0x0
	s_load_dwordx2 s[10:11], s[0:1], 0x18
	v_mul_u32_u24_e32 v1, 0x493, v0
	v_add_u32_sdwa v6, s2, v1 dst_sel:DWORD dst_unused:UNUSED_PAD src0_sel:DWORD src1_sel:WORD_1
	v_mov_b32_e32 v4, 0
	s_waitcnt lgkmcnt(0)
	v_cmp_lt_u64_e64 s[2:3], s[6:7], 2
	v_mov_b32_e32 v7, v4
	s_and_b64 vcc, exec, s[2:3]
	v_mov_b64_e32 v[2:3], 0
	s_cbranch_vccnz .LBB0_8
; %bb.1:
	s_load_dwordx2 s[2:3], s[0:1], 0x10
	s_add_u32 s12, s10, 8
	s_addc_u32 s13, s11, 0
	s_mov_b64 s[14:15], 1
	v_mov_b64_e32 v[2:3], 0
	s_waitcnt lgkmcnt(0)
	s_add_u32 s16, s2, 8
	s_addc_u32 s17, s3, 0
.LBB0_2:                                ; =>This Inner Loop Header: Depth=1
	s_load_dwordx2 s[18:19], s[16:17], 0x0
                                        ; implicit-def: $vgpr8_vgpr9
	s_waitcnt lgkmcnt(0)
	v_or_b32_e32 v5, s19, v7
	v_cmp_ne_u64_e32 vcc, 0, v[4:5]
	s_and_saveexec_b64 s[2:3], vcc
	s_xor_b64 s[20:21], exec, s[2:3]
	s_cbranch_execz .LBB0_4
; %bb.3:                                ;   in Loop: Header=BB0_2 Depth=1
	v_cvt_f32_u32_e32 v1, s18
	v_cvt_f32_u32_e32 v5, s19
	s_sub_u32 s2, 0, s18
	s_subb_u32 s3, 0, s19
	v_fmac_f32_e32 v1, 0x4f800000, v5
	v_rcp_f32_e32 v1, v1
	s_nop 0
	v_mul_f32_e32 v1, 0x5f7ffffc, v1
	v_mul_f32_e32 v5, 0x2f800000, v1
	v_trunc_f32_e32 v5, v5
	v_fmac_f32_e32 v1, 0xcf800000, v5
	v_cvt_u32_f32_e32 v5, v5
	v_cvt_u32_f32_e32 v1, v1
	v_mul_lo_u32 v8, s2, v5
	v_mul_hi_u32 v10, s2, v1
	v_mul_lo_u32 v9, s3, v1
	v_add_u32_e32 v10, v10, v8
	v_mul_lo_u32 v12, s2, v1
	v_add_u32_e32 v13, v10, v9
	v_mul_hi_u32 v8, v1, v12
	v_mul_hi_u32 v11, v1, v13
	v_mul_lo_u32 v10, v1, v13
	v_mov_b32_e32 v9, v4
	v_lshl_add_u64 v[8:9], v[8:9], 0, v[10:11]
	v_mul_hi_u32 v11, v5, v12
	v_mul_lo_u32 v12, v5, v12
	v_add_co_u32_e32 v8, vcc, v8, v12
	v_mul_hi_u32 v10, v5, v13
	s_nop 0
	v_addc_co_u32_e32 v8, vcc, v9, v11, vcc
	v_mov_b32_e32 v9, v4
	s_nop 0
	v_addc_co_u32_e32 v11, vcc, 0, v10, vcc
	v_mul_lo_u32 v10, v5, v13
	v_lshl_add_u64 v[8:9], v[8:9], 0, v[10:11]
	v_add_co_u32_e32 v1, vcc, v1, v8
	v_mul_lo_u32 v10, s2, v1
	s_nop 0
	v_addc_co_u32_e32 v5, vcc, v5, v9, vcc
	v_mul_lo_u32 v8, s2, v5
	v_mul_hi_u32 v9, s2, v1
	v_add_u32_e32 v8, v9, v8
	v_mul_lo_u32 v9, s3, v1
	v_add_u32_e32 v12, v8, v9
	v_mul_hi_u32 v14, v5, v10
	v_mul_lo_u32 v15, v5, v10
	v_mul_hi_u32 v9, v1, v12
	v_mul_lo_u32 v8, v1, v12
	v_mul_hi_u32 v10, v1, v10
	v_mov_b32_e32 v11, v4
	v_lshl_add_u64 v[8:9], v[10:11], 0, v[8:9]
	v_add_co_u32_e32 v8, vcc, v8, v15
	v_mul_hi_u32 v13, v5, v12
	s_nop 0
	v_addc_co_u32_e32 v8, vcc, v9, v14, vcc
	v_mul_lo_u32 v10, v5, v12
	s_nop 0
	v_addc_co_u32_e32 v11, vcc, 0, v13, vcc
	v_mov_b32_e32 v9, v4
	v_lshl_add_u64 v[8:9], v[8:9], 0, v[10:11]
	v_add_co_u32_e32 v1, vcc, v1, v8
	v_mul_hi_u32 v10, v6, v1
	s_nop 0
	v_addc_co_u32_e32 v5, vcc, v5, v9, vcc
	v_mad_u64_u32 v[8:9], s[2:3], v6, v5, 0
	v_mov_b32_e32 v11, v4
	v_lshl_add_u64 v[8:9], v[10:11], 0, v[8:9]
	v_mad_u64_u32 v[12:13], s[2:3], v7, v1, 0
	v_add_co_u32_e32 v1, vcc, v8, v12
	v_mad_u64_u32 v[10:11], s[2:3], v7, v5, 0
	s_nop 0
	v_addc_co_u32_e32 v8, vcc, v9, v13, vcc
	v_mov_b32_e32 v9, v4
	s_nop 0
	v_addc_co_u32_e32 v11, vcc, 0, v11, vcc
	v_lshl_add_u64 v[8:9], v[8:9], 0, v[10:11]
	v_mul_lo_u32 v1, s19, v8
	v_mul_lo_u32 v5, s18, v9
	v_mad_u64_u32 v[10:11], s[2:3], s18, v8, 0
	v_add3_u32 v1, v11, v5, v1
	v_sub_u32_e32 v5, v7, v1
	v_mov_b32_e32 v11, s19
	v_sub_co_u32_e32 v14, vcc, v6, v10
	v_lshl_add_u64 v[12:13], v[8:9], 0, 1
	s_nop 0
	v_subb_co_u32_e64 v5, s[2:3], v5, v11, vcc
	v_subrev_co_u32_e64 v10, s[2:3], s18, v14
	v_subb_co_u32_e32 v1, vcc, v7, v1, vcc
	s_nop 0
	v_subbrev_co_u32_e64 v5, s[2:3], 0, v5, s[2:3]
	v_cmp_le_u32_e64 s[2:3], s19, v5
	v_cmp_le_u32_e32 vcc, s19, v1
	s_nop 0
	v_cndmask_b32_e64 v11, 0, -1, s[2:3]
	v_cmp_le_u32_e64 s[2:3], s18, v10
	s_nop 1
	v_cndmask_b32_e64 v10, 0, -1, s[2:3]
	v_cmp_eq_u32_e64 s[2:3], s19, v5
	s_nop 1
	v_cndmask_b32_e64 v5, v11, v10, s[2:3]
	v_lshl_add_u64 v[10:11], v[8:9], 0, 2
	v_cmp_ne_u32_e64 s[2:3], 0, v5
	s_nop 1
	v_cndmask_b32_e64 v5, v13, v11, s[2:3]
	v_cndmask_b32_e64 v11, 0, -1, vcc
	v_cmp_le_u32_e32 vcc, s18, v14
	s_nop 1
	v_cndmask_b32_e64 v13, 0, -1, vcc
	v_cmp_eq_u32_e32 vcc, s19, v1
	s_nop 1
	v_cndmask_b32_e32 v1, v11, v13, vcc
	v_cmp_ne_u32_e32 vcc, 0, v1
	v_cndmask_b32_e64 v1, v12, v10, s[2:3]
	s_nop 0
	v_cndmask_b32_e32 v9, v9, v5, vcc
	v_cndmask_b32_e32 v8, v8, v1, vcc
.LBB0_4:                                ;   in Loop: Header=BB0_2 Depth=1
	s_andn2_saveexec_b64 s[2:3], s[20:21]
	s_cbranch_execz .LBB0_6
; %bb.5:                                ;   in Loop: Header=BB0_2 Depth=1
	v_cvt_f32_u32_e32 v1, s18
	s_sub_i32 s20, 0, s18
	v_rcp_iflag_f32_e32 v1, v1
	s_nop 0
	v_mul_f32_e32 v1, 0x4f7ffffe, v1
	v_cvt_u32_f32_e32 v1, v1
	v_mul_lo_u32 v5, s20, v1
	v_mul_hi_u32 v5, v1, v5
	v_add_u32_e32 v1, v1, v5
	v_mul_hi_u32 v1, v6, v1
	v_mul_lo_u32 v5, v1, s18
	v_sub_u32_e32 v5, v6, v5
	v_add_u32_e32 v8, 1, v1
	v_subrev_u32_e32 v9, s18, v5
	v_cmp_le_u32_e32 vcc, s18, v5
	s_nop 1
	v_cndmask_b32_e32 v5, v5, v9, vcc
	v_cndmask_b32_e32 v1, v1, v8, vcc
	v_add_u32_e32 v8, 1, v1
	v_cmp_le_u32_e32 vcc, s18, v5
	v_mov_b32_e32 v9, v4
	s_nop 0
	v_cndmask_b32_e32 v8, v1, v8, vcc
.LBB0_6:                                ;   in Loop: Header=BB0_2 Depth=1
	s_or_b64 exec, exec, s[2:3]
	v_mad_u64_u32 v[10:11], s[2:3], v8, s18, 0
	s_load_dwordx2 s[2:3], s[12:13], 0x0
	v_mul_lo_u32 v1, v9, s18
	v_mul_lo_u32 v5, v8, s19
	v_add3_u32 v1, v11, v5, v1
	v_sub_co_u32_e32 v5, vcc, v6, v10
	s_add_u32 s14, s14, 1
	s_nop 0
	v_subb_co_u32_e32 v1, vcc, v7, v1, vcc
	s_addc_u32 s15, s15, 0
	s_waitcnt lgkmcnt(0)
	v_mul_lo_u32 v1, s2, v1
	v_mul_lo_u32 v6, s3, v5
	v_mad_u64_u32 v[2:3], s[2:3], s2, v5, v[2:3]
	s_add_u32 s12, s12, 8
	v_add3_u32 v3, v6, v3, v1
	s_addc_u32 s13, s13, 0
	v_mov_b64_e32 v[6:7], s[6:7]
	s_add_u32 s16, s16, 8
	v_cmp_ge_u64_e32 vcc, s[14:15], v[6:7]
	s_addc_u32 s17, s17, 0
	s_cbranch_vccnz .LBB0_9
; %bb.7:                                ;   in Loop: Header=BB0_2 Depth=1
	v_mov_b64_e32 v[6:7], v[8:9]
	s_branch .LBB0_2
.LBB0_8:
	v_mov_b64_e32 v[8:9], v[6:7]
.LBB0_9:
	s_lshl_b64 s[2:3], s[6:7], 3
	s_add_u32 s2, s10, s2
	s_addc_u32 s3, s11, s3
	s_load_dwordx2 s[6:7], s[2:3], 0x0
	s_load_dwordx2 s[10:11], s[0:1], 0x20
	s_mov_b32 s2, 0x4924925
                                        ; implicit-def: $vgpr66_vgpr67
                                        ; implicit-def: $vgpr68_vgpr69
                                        ; implicit-def: $vgpr80
                                        ; implicit-def: $vgpr76
                                        ; implicit-def: $vgpr70
                                        ; implicit-def: $vgpr78
                                        ; implicit-def: $vgpr72
	s_waitcnt lgkmcnt(0)
	v_mul_lo_u32 v1, s6, v9
	v_mul_lo_u32 v4, s7, v8
	v_mad_u64_u32 v[2:3], s[0:1], s6, v8, v[2:3]
	v_add3_u32 v3, v4, v3, v1
	v_mul_hi_u32 v1, v0, s2
	v_mul_u32_u24_e32 v1, 56, v1
	v_sub_u32_e32 v60, v0, v1
	v_cmp_gt_u64_e64 s[0:1], s[10:11], v[8:9]
	v_cmp_le_u64_e32 vcc, s[10:11], v[8:9]
	v_add_u32_e32 v64, 56, v60
	s_and_saveexec_b64 s[2:3], vcc
	s_xor_b64 s[2:3], exec, s[2:3]
; %bb.10:
	v_add_u32_e32 v69, 0xe0, v60
	v_add_u32_e32 v67, 0x188, v60
	v_add_u32_e32 v64, 56, v60
	v_add_u32_e32 v80, 0x70, v60
	v_add_u32_e32 v76, 0xa8, v60
	v_add_u32_e32 v68, 0x118, v60
	v_add_u32_e32 v66, 0x150, v60
	v_or_b32_e32 v70, 0x1c0, v60
	v_mov_b32_e32 v78, v69
	v_mov_b32_e32 v72, v67
; %bb.11:
	s_or_saveexec_b64 s[2:3], s[2:3]
	v_lshl_add_u64 v[62:63], v[2:3], 3, s[8:9]
	v_lshl_add_u32 v160, v60, 3, 0
	s_xor_b64 exec, exec, s[2:3]
	s_cbranch_execz .LBB0_13
; %bb.12:
	v_mov_b32_e32 v61, 0
	v_add_u32_e32 v68, 0x118, v60
	v_add_u32_e32 v69, 0xe0, v60
	v_mov_b32_e32 v12, v68
	v_mov_b32_e32 v13, v61
	v_lshl_add_u64 v[0:1], v[60:61], 3, v[62:63]
	v_mov_b32_e32 v10, v69
	v_mov_b32_e32 v11, v61
	v_lshl_add_u64 v[12:13], v[12:13], 3, v[62:63]
	global_load_dwordx2 v[2:3], v[0:1], off
	global_load_dwordx2 v[4:5], v[0:1], off offset:448
	global_load_dwordx2 v[6:7], v[0:1], off offset:896
	;; [unrolled: 1-line block ×3, first 2 shown]
	v_lshl_add_u64 v[10:11], v[10:11], 3, v[62:63]
	global_load_dwordx2 v[12:13], v[12:13], off
	s_nop 0
	global_load_dwordx2 v[18:19], v[0:1], off offset:3584
	global_load_dwordx2 v[20:21], v[10:11], off
	global_load_dwordx2 v[22:23], v[0:1], off offset:4032
	s_movk_i32 s6, 0x1000
	v_add_co_u32_e32 v28, vcc, s6, v0
	s_movk_i32 s7, 0x2000
	s_nop 0
	v_addc_co_u32_e32 v29, vcc, 0, v1, vcc
	v_add_u32_e32 v67, 0x188, v60
	v_add_u32_e32 v66, 0x150, v60
	v_add_co_u32_e32 v30, vcc, s7, v0
	v_mov_b32_e32 v14, v66
	v_mov_b32_e32 v15, v61
	;; [unrolled: 1-line block ×4, first 2 shown]
	v_or_b32_e32 v10, 0x380, v60
	s_movk_i32 s8, 0x3000
	v_mov_b32_e32 v11, v61
	v_addc_co_u32_e32 v31, vcc, 0, v1, vcc
	v_lshl_add_u64 v[14:15], v[14:15], 3, v[62:63]
	v_lshl_add_u64 v[16:17], v[16:17], 3, v[62:63]
	v_or_b32_e32 v24, 0x540, v60
	v_mov_b32_e32 v25, v61
	v_lshl_add_u64 v[10:11], v[10:11], 3, v[62:63]
	v_add_co_u32_e32 v0, vcc, s8, v0
	v_or_b32_e32 v26, 0x700, v60
	v_lshl_add_u64 v[24:25], v[24:25], 3, v[62:63]
	v_addc_co_u32_e32 v1, vcc, 0, v1, vcc
	global_load_dwordx2 v[32:33], v[14:15], off
	global_load_dwordx2 v[34:35], v[16:17], off
	global_load_dwordx2 v[36:37], v[28:29], off offset:384
	global_load_dwordx2 v[38:39], v[28:29], off offset:832
	;; [unrolled: 1-line block ×8, first 2 shown]
	global_load_dwordx2 v[52:53], v[10:11], off
	global_load_dwordx2 v[54:55], v[28:29], off offset:3968
	global_load_dwordx2 v[56:57], v[30:31], off offset:768
	;; [unrolled: 1-line block ×4, first 2 shown]
                                        ; kill: killed $vgpr16_vgpr17
                                        ; kill: killed $vgpr28 killed $vgpr29
                                        ; kill: killed $vgpr10_vgpr11
                                        ; kill: killed $vgpr14_vgpr15
	s_nop 0
	global_load_dwordx2 v[10:11], v[30:31], off offset:2112
	global_load_dwordx2 v[14:15], v[30:31], off offset:3008
	;; [unrolled: 1-line block ×3, first 2 shown]
	global_load_dwordx2 v[28:29], v[24:25], off
	global_load_dwordx2 v[74:75], v[30:31], off offset:3904
	global_load_dwordx2 v[78:79], v[0:1], off offset:256
	;; [unrolled: 1-line block ×5, first 2 shown]
	v_mov_b32_e32 v27, v61
	v_lshl_add_u64 v[24:25], v[26:27], 3, v[62:63]
	global_load_dwordx2 v[26:27], v[0:1], off offset:2496
	global_load_dwordx2 v[30:31], v[24:25], off
	global_load_dwordx2 v[88:89], v[0:1], off offset:2944
	v_add_u32_e32 v0, 0x800, v160
	v_lshl_add_u32 v1, v69, 3, 0
	v_lshl_add_u32 v24, v68, 3, 0
	;; [unrolled: 1-line block ×4, first 2 shown]
	v_add_u32_e32 v80, 0x70, v60
	v_add_u32_e32 v76, 0xa8, v60
	v_or_b32_e32 v70, 0x1c0, v60
	s_waitcnt vmcnt(33)
	ds_write2_b64 v160, v[2:3], v[4:5] offset1:56
	s_waitcnt vmcnt(31)
	ds_write2_b64 v160, v[6:7], v[8:9] offset0:112 offset1:168
	s_waitcnt vmcnt(28)
	ds_write_b64 v1, v[20:21]
	ds_write_b64 v24, v[12:13]
	s_waitcnt vmcnt(26)
	ds_write_b64 v25, v[32:33]
	s_waitcnt vmcnt(25)
	ds_write_b64 v61, v[34:35]
	ds_write2_b64 v0, v[18:19], v[22:23] offset0:192 offset1:248
	v_add_u32_e32 v0, 0x1000, v160
	s_waitcnt vmcnt(23)
	ds_write2_b64 v0, v[36:37], v[38:39] offset0:48 offset1:104
	s_waitcnt vmcnt(21)
	ds_write2_b64 v0, v[40:41], v[42:43] offset0:160 offset1:216
	v_add_u32_e32 v0, 0x1800, v160
	s_waitcnt vmcnt(19)
	ds_write2_b64 v0, v[44:45], v[46:47] offset0:16 offset1:72
	s_waitcnt vmcnt(16)
	ds_write2_b64 v0, v[52:53], v[48:49] offset0:128 offset1:184
	v_add_u32_e32 v0, 0x1c00, v160
	s_waitcnt vmcnt(15)
	ds_write2_b64 v0, v[54:55], v[50:51] offset0:112 offset1:168
	v_add_u32_e32 v0, 0x2000, v160
	;; [unrolled: 3-line block ×4, first 2 shown]
	s_waitcnt vmcnt(8)
	ds_write2_b64 v0, v[28:29], v[14:15] offset0:64 offset1:120
	s_waitcnt vmcnt(7)
	ds_write2_b64 v0, v[16:17], v[74:75] offset0:176 offset1:232
	v_add_u32_e32 v0, 0x3000, v160
	s_waitcnt vmcnt(5)
	ds_write2_b64 v0, v[78:79], v[82:83] offset0:32 offset1:88
	s_waitcnt vmcnt(3)
	ds_write2_b64 v0, v[84:85], v[86:87] offset0:144 offset1:200
	v_add_u32_e32 v0, 0x3800, v160
	v_mov_b32_e32 v72, v67
	v_mov_b32_e32 v78, v69
	s_waitcnt vmcnt(1)
	ds_write2_b64 v0, v[30:31], v[26:27] offset1:56
	s_waitcnt vmcnt(0)
	ds_write_b64 v160, v[88:89] offset:15232
.LBB0_13:
	s_or_b64 exec, exec, s[2:3]
	v_add_u32_e32 v40, 0x800, v160
	v_add_u32_e32 v71, 0x2800, v160
	v_add_u32_e32 v20, 0x1c00, v160
	s_waitcnt lgkmcnt(0)
	; wave barrier
	s_waitcnt lgkmcnt(0)
	ds_read2_b64 v[0:3], v40 offset0:192 offset1:234
	ds_read2_b64 v[8:11], v71 offset0:148 offset1:190
	ds_read2_b64 v[16:19], v160 offset1:56
	ds_read2_b64 v[22:25], v20 offset0:84 offset1:140
	v_add_u32_e32 v73, 0x1800, v160
	v_add_u32_e32 v12, 0x3400, v160
	;; [unrolled: 1-line block ×3, first 2 shown]
	ds_read2_b64 v[4:7], v73 offset0:114 offset1:170
	v_add_u32_e32 v65, 0x3800, v160
	ds_read2_b64 v[12:15], v12 offset0:86 offset1:142
	v_add_u32_e32 v81, 0x2000, v160
	v_add_u32_e32 v21, 0x1000, v160
	;; [unrolled: 1-line block ×4, first 2 shown]
	ds_read2_b64 v[26:29], v26 offset0:96 offset1:152
	ds_read2_b64 v[30:33], v65 offset0:70 offset1:126
	ds_read2_b64 v[34:37], v40 offset0:80 offset1:136
	ds_read2_b64 v[42:45], v71 offset0:36 offset1:92
	ds_read2_b64 v[46:49], v73 offset0:2 offset1:58
	ds_read2_b64 v[50:53], v81 offset0:180 offset1:236
	ds_read2_b64 v[54:57], v21 offset0:146 offset1:202
	ds_read2_b64 v[82:85], v77 offset0:102 offset1:158
	ds_read2_b64 v[86:89], v160 offset0:112 offset1:168
	ds_read2_b64 v[90:93], v81 offset0:68 offset1:124
	ds_read2_b64 v[94:97], v21 offset0:34 offset1:90
	ds_read2_b64 v[98:101], v79 offset0:118 offset1:174
	s_waitcnt lgkmcnt(14)
	v_pk_add_f32 v[22:23], v[16:17], v[22:23] neg_lo:[0,1] neg_hi:[0,1]
	v_pk_add_f32 v[10:11], v[2:3], v[10:11] neg_lo:[0,1] neg_hi:[0,1]
	v_pk_fma_f32 v[16:17], v[16:17], 2.0, v[22:23] op_sel_hi:[1,0,1] neg_lo:[0,0,1] neg_hi:[0,0,1]
	v_pk_fma_f32 v[2:3], v[2:3], 2.0, v[10:11] op_sel_hi:[1,0,1] neg_lo:[0,0,1] neg_hi:[0,0,1]
	v_pk_add_f32 v[38:39], v[22:23], v[10:11] op_sel:[0,1] op_sel_hi:[1,0] neg_lo:[0,1] neg_hi:[0,1]
	v_pk_add_f32 v[10:11], v[22:23], v[10:11] op_sel:[0,1] op_sel_hi:[1,0]
	v_pk_add_f32 v[2:3], v[16:17], v[2:3] neg_lo:[0,1] neg_hi:[0,1]
	v_mov_b32_e32 v39, v11
	v_pk_fma_f32 v[16:17], v[16:17], 2.0, v[2:3] op_sel_hi:[1,0,1] neg_lo:[0,0,1] neg_hi:[0,0,1]
	v_pk_fma_f32 v[22:23], v[22:23], 2.0, v[38:39] op_sel_hi:[1,0,1] neg_lo:[0,0,1] neg_hi:[0,0,1]
	v_mad_u32_u24 v10, v60, 24, v160
	s_waitcnt lgkmcnt(0)
	; wave barrier
	s_waitcnt lgkmcnt(0)
	ds_write2_b64 v10, v[16:17], v[22:23] offset1:1
	ds_write2_b64 v10, v[2:3], v[38:39] offset0:2 offset1:3
	v_pk_add_f32 v[2:3], v[18:19], v[24:25] neg_lo:[0,1] neg_hi:[0,1]
	v_pk_add_f32 v[16:17], v[94:95], v[98:99] neg_lo:[0,1] neg_hi:[0,1]
	v_pk_fma_f32 v[10:11], v[18:19], 2.0, v[2:3] op_sel_hi:[1,0,1] neg_lo:[0,0,1] neg_hi:[0,0,1]
	v_pk_fma_f32 v[18:19], v[94:95], 2.0, v[16:17] op_sel_hi:[1,0,1] neg_lo:[0,0,1] neg_hi:[0,0,1]
	v_pk_add_f32 v[22:23], v[2:3], v[16:17] op_sel:[0,1] op_sel_hi:[1,0] neg_lo:[0,1] neg_hi:[0,1]
	v_pk_add_f32 v[16:17], v[2:3], v[16:17] op_sel:[0,1] op_sel_hi:[1,0]
	v_pk_add_f32 v[18:19], v[10:11], v[18:19] neg_lo:[0,1] neg_hi:[0,1]
	v_mov_b32_e32 v23, v17
	v_pk_fma_f32 v[10:11], v[10:11], 2.0, v[18:19] op_sel_hi:[1,0,1] neg_lo:[0,0,1] neg_hi:[0,0,1]
	v_pk_fma_f32 v[2:3], v[2:3], 2.0, v[22:23] op_sel_hi:[1,0,1] neg_lo:[0,0,1] neg_hi:[0,0,1]
	v_lshl_add_u32 v16, v64, 5, 0
	ds_write2_b64 v16, v[10:11], v[2:3] offset1:1
	ds_write2_b64 v16, v[18:19], v[22:23] offset0:2 offset1:3
	v_pk_add_f32 v[2:3], v[96:97], v[100:101] neg_lo:[0,1] neg_hi:[0,1]
	v_pk_add_f32 v[16:17], v[86:87], v[90:91] neg_lo:[0,1] neg_hi:[0,1]
	v_pk_fma_f32 v[10:11], v[96:97], 2.0, v[2:3] op_sel_hi:[1,0,1] neg_lo:[0,0,1] neg_hi:[0,0,1]
	v_pk_fma_f32 v[18:19], v[86:87], 2.0, v[16:17] op_sel_hi:[1,0,1] neg_lo:[0,0,1] neg_hi:[0,0,1]
	v_pk_add_f32 v[22:23], v[16:17], v[2:3] op_sel:[0,1] op_sel_hi:[1,0] neg_lo:[0,1] neg_hi:[0,1]
	v_pk_add_f32 v[2:3], v[16:17], v[2:3] op_sel:[0,1] op_sel_hi:[1,0]
	v_pk_add_f32 v[10:11], v[18:19], v[10:11] neg_lo:[0,1] neg_hi:[0,1]
	v_mov_b32_e32 v23, v3
	v_pk_fma_f32 v[18:19], v[18:19], 2.0, v[10:11] op_sel_hi:[1,0,1] neg_lo:[0,0,1] neg_hi:[0,0,1]
	v_pk_fma_f32 v[16:17], v[16:17], 2.0, v[22:23] op_sel_hi:[1,0,1] neg_lo:[0,0,1] neg_hi:[0,0,1]
	v_lshl_add_u32 v2, v80, 5, 0
	;; [unrolled: 13-line block ×5, first 2 shown]
	ds_write2_b64 v61, v[10:11], v[2:3] offset1:1
	ds_write2_b64 v61, v[16:17], v[18:19] offset0:2 offset1:3
	v_pk_add_f32 v[2:3], v[0:1], v[8:9] neg_lo:[0,1] neg_hi:[0,1]
	v_pk_add_f32 v[8:9], v[6:7], v[32:33] neg_lo:[0,1] neg_hi:[0,1]
	;; [unrolled: 1-line block ×3, first 2 shown]
	v_pk_add_f32 v[10:11], v[2:3], v[8:9] op_sel:[0,1] op_sel_hi:[1,0]
	v_pk_add_f32 v[52:53], v[2:3], v[8:9] op_sel:[0,1] op_sel_hi:[1,0] neg_lo:[0,1] neg_hi:[0,1]
	v_pk_add_f32 v[14:15], v[48:49], v[14:15] neg_lo:[0,1] neg_hi:[0,1]
	v_mov_b32_e32 v53, v11
	v_pk_add_f32 v[10:11], v[4:5], v[30:31] neg_lo:[0,1] neg_hi:[0,1]
	v_pk_add_f32 v[12:13], v[36:37], v[44:45] neg_lo:[0,1] neg_hi:[0,1]
	v_pk_fma_f32 v[22:23], v[34:35], 2.0, v[16:17] op_sel_hi:[1,0,1] neg_lo:[0,0,1] neg_hi:[0,0,1]
	v_pk_fma_f32 v[24:25], v[48:49], 2.0, v[14:15] op_sel_hi:[1,0,1] neg_lo:[0,0,1] neg_hi:[0,0,1]
	v_pk_add_f32 v[26:27], v[16:17], v[14:15] op_sel:[0,1] op_sel_hi:[1,0] neg_lo:[0,1] neg_hi:[0,1]
	v_pk_add_f32 v[14:15], v[16:17], v[14:15] op_sel:[0,1] op_sel_hi:[1,0]
	v_pk_fma_f32 v[18:19], v[36:37], 2.0, v[12:13] op_sel_hi:[1,0,1] neg_lo:[0,0,1] neg_hi:[0,0,1]
	v_pk_add_f32 v[24:25], v[22:23], v[24:25] neg_lo:[0,1] neg_hi:[0,1]
	v_mov_b32_e32 v27, v15
	v_pk_fma_f32 v[4:5], v[4:5], 2.0, v[10:11] op_sel_hi:[1,0,1] neg_lo:[0,0,1] neg_hi:[0,0,1]
	v_pk_add_f32 v[14:15], v[12:13], v[10:11] op_sel:[0,1] op_sel_hi:[1,0] neg_lo:[0,1] neg_hi:[0,1]
	v_pk_add_f32 v[10:11], v[12:13], v[10:11] op_sel:[0,1] op_sel_hi:[1,0]
	v_lshl_add_u32 v28, v66, 5, 0
	v_pk_fma_f32 v[22:23], v[22:23], 2.0, v[24:25] op_sel_hi:[1,0,1] neg_lo:[0,0,1] neg_hi:[0,0,1]
	v_pk_fma_f32 v[16:17], v[16:17], 2.0, v[26:27] op_sel_hi:[1,0,1] neg_lo:[0,0,1] neg_hi:[0,0,1]
	v_pk_add_f32 v[4:5], v[18:19], v[4:5] neg_lo:[0,1] neg_hi:[0,1]
	v_mov_b32_e32 v15, v11
	v_lshl_add_u32 v29, v72, 5, 0
	ds_write2_b64 v28, v[22:23], v[16:17] offset1:1
	v_pk_fma_f32 v[16:17], v[18:19], 2.0, v[4:5] op_sel_hi:[1,0,1] neg_lo:[0,0,1] neg_hi:[0,0,1]
	v_pk_fma_f32 v[12:13], v[12:13], 2.0, v[14:15] op_sel_hi:[1,0,1] neg_lo:[0,0,1] neg_hi:[0,0,1]
	v_cmp_gt_u32_e32 vcc, 42, v60
	ds_write2_b64 v28, v[24:25], v[26:27] offset0:2 offset1:3
	ds_write2_b64 v29, v[16:17], v[12:13] offset1:1
	ds_write2_b64 v29, v[4:5], v[14:15] offset0:2 offset1:3
	s_and_saveexec_b64 s[2:3], vcc
	s_cbranch_execz .LBB0_15
; %bb.14:
	v_pk_fma_f32 v[0:1], v[0:1], 2.0, v[2:3] op_sel_hi:[1,0,1] neg_lo:[0,0,1] neg_hi:[0,0,1]
	v_pk_fma_f32 v[4:5], v[6:7], 2.0, v[8:9] op_sel_hi:[1,0,1] neg_lo:[0,0,1] neg_hi:[0,0,1]
	v_lshl_add_u32 v10, v70, 5, 0
	v_pk_add_f32 v[4:5], v[0:1], v[4:5] neg_lo:[0,1] neg_hi:[0,1]
	v_pk_fma_f32 v[2:3], v[2:3], 2.0, v[52:53] op_sel_hi:[1,0,1] neg_lo:[0,0,1] neg_hi:[0,0,1]
	v_pk_fma_f32 v[0:1], v[0:1], 2.0, v[4:5] op_sel_hi:[1,0,1] neg_lo:[0,0,1] neg_hi:[0,0,1]
	ds_write2_b64 v10, v[0:1], v[2:3] offset1:1
	ds_write2_b64 v10, v[4:5], v[52:53] offset0:2 offset1:3
.LBB0_15:
	s_or_b64 exec, exec, s[2:3]
	v_and_b32_e32 v114, 3, v60
	v_mul_u32_u24_e32 v0, 6, v114
	v_lshlrev_b32_e32 v8, 3, v0
	s_waitcnt lgkmcnt(0)
	; wave barrier
	s_waitcnt lgkmcnt(0)
	global_load_dwordx4 v[16:19], v8, s[4:5]
	global_load_dwordx4 v[4:7], v8, s[4:5] offset:16
	global_load_dwordx4 v[0:3], v8, s[4:5] offset:32
	ds_read2_b64 v[28:31], v81 offset0:96 offset1:152
	v_add_u32_e32 v82, 0x230, v60
	ds_read2_b64 v[24:27], v21 offset0:104 offset1:160
	ds_read2_b64 v[12:15], v71 offset0:176 offset1:232
	;; [unrolled: 1-line block ×5, first 2 shown]
	ds_read2_b64 v[36:39], v65 offset1:56
	ds_read2_b64 v[40:43], v40 offset0:80 offset1:136
	ds_read2_b64 v[44:47], v77 offset0:144 offset1:200
	ds_read2_b64 v[48:51], v73 offset0:128 offset1:184
	ds_read_b64 v[86:87], v160 offset:15232
	ds_read_b64 v[124:125], v160
	v_add_u32_e32 v74, 0x348, v60
	v_lshl_add_u32 v162, v82, 3, 0
	v_lshl_add_u32 v75, v64, 3, 0
	;; [unrolled: 1-line block ×4, first 2 shown]
	ds_read_b64 v[100:101], v162
	ds_read_b64 v[126:127], v161
	;; [unrolled: 1-line block ×4, first 2 shown]
	s_waitcnt lgkmcnt(10)
	v_mov_b32_e32 v84, v35
	v_mov_b32_e32 v85, v22
	s_waitcnt lgkmcnt(5)
	v_mov_b32_e32 v88, v87
	v_mov_b32_e32 v89, v8
	;; [unrolled: 1-line block ×5, first 2 shown]
	s_waitcnt lgkmcnt(3)
	v_mov_b32_e32 v130, v101
	v_mov_b32_e32 v148, v13
	;; [unrolled: 1-line block ×3, first 2 shown]
	s_movk_i32 s2, 0xffe8
	v_lshl_add_u32 v163, v78, 3, 0
	v_mov_b32_e32 v154, v22
	s_mov_b32 s12, 0x3eae86e6
	s_mov_b32 s16, 0x3d64c772
	s_mov_b32 s13, 0xbf08b237
	s_mov_b32 s17, 0x3f4a47b2
	s_mov_b32 s18, s13
	s_mov_b32 s19, s12
	s_mov_b32 s14, 0x3f955555
	s_mov_b32 s10, s17
	s_mov_b32 s11, s16
	s_mov_b32 s6, 0x3f5ff5aa
	s_mov_b32 s8, 0x3f3bfb3b
	v_cmp_gt_u32_e32 vcc, 28, v60
	s_waitcnt vmcnt(2)
	v_mov_b32_e32 v98, v17
	s_waitcnt vmcnt(1)
	v_mov_b32_e32 v99, v5
	;; [unrolled: 2-line block ×3, first 2 shown]
	v_pk_mul_f32 v[104:105], v[36:37], v[2:3] op_sel_hi:[1,0]
	v_pk_mul_f32 v[106:107], v[46:47], v[2:3] op_sel_hi:[1,0]
	;; [unrolled: 1-line block ×4, first 2 shown]
	v_mul_f32_e32 v108, v101, v19
	v_mul_f32_e32 v133, v29, v6
	v_pk_mul_f32 v[92:93], v[86:87], v[2:3] op_sel:[1,0] op_sel_hi:[0,1]
	v_pk_mul_f32 v[56:57], v[38:39], v[2:3] op_sel_hi:[1,0]
	v_pk_mul_f32 v[116:117], v[44:45], v[2:3] op_sel_hi:[1,0]
	v_mov_b32_e32 v134, v2
	v_mov_b32_e32 v2, v3
	v_mov_b32_e32 v3, v7
	v_mul_f32_e32 v137, v28, v7
	v_mul_f32_e32 v110, v25, v19
	;; [unrolled: 1-line block ×3, first 2 shown]
	v_mov_b32_e32 v25, v31
	v_mov_b32_e32 v101, v29
	v_mul_f32_e32 v111, v30, v7
	v_pk_fma_f32 v[30:31], v[36:37], v[102:103], v[104:105] op_sel:[0,0,1] op_sel_hi:[1,0,0]
	v_pk_fma_f32 v[28:29], v[36:37], v[102:103], v[104:105] op_sel:[0,0,1] op_sel_hi:[1,0,0] neg_lo:[1,0,0] neg_hi:[1,0,0]
	v_pk_fma_f32 v[138:139], v[46:47], v[102:103], v[106:107] op_sel:[0,0,1] op_sel_hi:[1,0,0]
	v_pk_fma_f32 v[112:113], v[46:47], v[102:103], v[106:107] op_sel:[0,0,1] op_sel_hi:[1,0,0] neg_lo:[1,0,0] neg_hi:[1,0,0]
	v_pk_mul_f32 v[36:37], v[84:85], v[98:99]
	v_pk_fma_f32 v[84:85], v[32:33], v[16:17], v[118:119] op_sel:[0,1,1] op_sel_hi:[1,1,0]
	v_pk_fma_f32 v[46:47], v[32:33], v[16:17], v[118:119] op_sel:[0,1,1] op_sel_hi:[1,1,0] neg_lo:[1,0,0] neg_hi:[1,0,0]
	v_pk_fma_f32 v[32:33], v[42:43], v[16:17], v[120:121] op_sel:[0,1,1] op_sel_hi:[1,1,0] neg_lo:[1,0,0] neg_hi:[1,0,0]
	v_pk_mul_f32 v[90:91], v[34:35], v[16:17] op_sel:[1,0] op_sel_hi:[0,1]
	v_mov_b32_e32 v35, v23
	v_mov_b32_e32 v96, v16
	;; [unrolled: 1-line block ×4, first 2 shown]
	v_pk_mul_f32 v[122:123], v[40:41], v[16:17] op_sel_hi:[1,0]
	v_mov_b32_e32 v135, v6
	v_pk_mul_f32 v[2:3], v[88:89], v[2:3]
	v_add_u32_e32 v32, 0x1400, v160
	v_pk_fma_f32 v[58:59], v[38:39], v[102:103], v[56:57] op_sel:[0,0,1] op_sel_hi:[1,0,0]
	v_pk_fma_f32 v[56:57], v[38:39], v[102:103], v[56:57] op_sel:[0,0,1] op_sel_hi:[1,0,0] neg_lo:[1,0,0] neg_hi:[1,0,0]
	v_pk_fma_f32 v[144:145], v[40:41], v[16:17], v[122:123] op_sel:[0,1,1] op_sel_hi:[1,1,0]
	v_pk_fma_f32 v[146:147], v[40:41], v[16:17], v[122:123] op_sel:[0,1,1] op_sel_hi:[1,1,0] neg_lo:[1,0,0] neg_hi:[1,0,0]
	v_pk_fma_f32 v[38:39], v[34:35], v[96:97], v[36:37] neg_lo:[0,0,1] neg_hi:[0,0,1]
	v_pk_fma_f32 v[36:37], v[34:35], v[96:97], v[36:37]
	v_pk_fma_f32 v[98:99], v[86:87], v[134:135], v[2:3] neg_lo:[0,0,1] neg_hi:[0,0,1]
	v_pk_fma_f32 v[96:97], v[86:87], v[134:135], v[2:3]
	v_mov_b32_e32 v134, v15
	v_mov_b32_e32 v135, v50
	v_mul_f32_e32 v28, v15, v1
	v_mov_b32_e32 v15, v51
	v_mul_f32_e32 v31, v13, v1
	;; [unrolled: 2-line block ×3, first 2 shown]
	v_mul_f32_e32 v153, v48, v5
	v_mul_f32_e32 v41, v51, v4
	;; [unrolled: 1-line block ×3, first 2 shown]
	ds_read2_b64 v[48:51], v32 offset0:88 offset1:144
	v_pk_fma_f32 v[140:141], v[44:45], v[102:103], v[116:117] op_sel:[0,0,1] op_sel_hi:[1,0,0]
	v_pk_fma_f32 v[142:143], v[44:45], v[102:103], v[116:117] op_sel:[0,0,1] op_sel_hi:[1,0,0] neg_lo:[1,0,0] neg_hi:[1,0,0]
	ds_read2_b64 v[116:119], v77 offset0:32 offset1:88
	v_pk_fma_f32 v[44:45], v[42:43], v[16:17], v[120:121] op_sel:[0,1,1] op_sel_hi:[1,1,0]
	s_waitcnt lgkmcnt(1)
	v_mul_f32_e32 v32, v51, v19
	v_fma_f32 v105, v50, v18, -v32
	v_add_u32_e32 v32, 0x2400, v160
	ds_read2_b64 v[120:123], v32 offset0:80 offset1:136
	v_mov_b32_e32 v2, v9
	s_waitcnt lgkmcnt(1)
	v_mov_b32_e32 v3, v118
	v_mov_b32_e32 v42, v7
	;; [unrolled: 1-line block ×3, first 2 shown]
	v_pk_mul_f32 v[2:3], v[2:3], v[42:43]
	v_mov_b32_e32 v42, v8
	v_mov_b32_e32 v43, v119
	;; [unrolled: 1-line block ×4, first 2 shown]
	v_pk_fma_f32 v[102:103], v[42:43], v[86:87], v[2:3]
	v_mov_b32_e32 v155, v50
	v_mov_b32_e32 v50, v23
	;; [unrolled: 1-line block ×4, first 2 shown]
	v_pk_mul_f32 v[156:157], v[50:51], v[42:43]
	v_pk_fma_f32 v[106:107], v[8:9], v[6:7], v[2:3] neg_lo:[0,0,1] neg_hi:[0,0,1]
	v_mul_f32_e32 v3, v49, v19
	v_mov_b32_e32 v2, v49
	s_waitcnt lgkmcnt(0)
	v_mov_b32_e32 v49, v123
	v_mul_f32_e32 v43, v121, v6
	v_mul_f32_e32 v51, v123, v6
	v_mov_b32_e32 v159, v6
	v_mov_b32_e32 v6, v19
	v_fma_f32 v86, v48, v18, -v3
	v_pk_mul_f32 v[8:9], v[48:49], v[6:7]
	v_mov_b32_e32 v3, v122
	v_mov_b32_e32 v158, v18
	v_pk_fma_f32 v[88:89], v[2:3], v[18:19], v[8:9]
	v_pk_fma_f32 v[2:3], v[2:3], v[158:159], v[8:9] neg_lo:[0,0,1] neg_hi:[0,0,1]
	v_mov_b32_e32 v8, v27
	v_mul_f32_e32 v2, v27, v19
	v_mov_b32_e32 v27, v121
	v_fma_f32 v150, v24, v18, -v110
	v_pk_mul_f32 v[24:25], v[24:25], v[6:7]
	v_mad_i32_i24 v102, v68, s2, v61
	v_pk_mul_f32 v[164:165], v[26:27], v[6:7]
	v_fma_f32 v40, v26, v18, -v2
	v_pk_fma_f32 v[166:167], v[128:129], v[18:19], v[24:25]
	v_pk_fma_f32 v[128:129], v[128:129], v[158:159], v[24:25] neg_lo:[0,0,1] neg_hi:[0,0,1]
	ds_read_b64 v[26:27], v102
	ds_read_b64 v[24:25], v163
	v_mov_b32_e32 v9, v120
	v_pk_fma_f32 v[48:49], v[8:9], v[18:19], v[164:165]
	v_pk_fma_f32 v[8:9], v[8:9], v[158:159], v[164:165] neg_lo:[0,0,1] neg_hi:[0,0,1]
	s_waitcnt lgkmcnt(1)
	v_pk_mul_f32 v[164:165], v[26:27], v[16:17] op_sel_hi:[1,0]
	v_mul_f32_e32 v87, v21, v4
	v_pk_fma_f32 v[168:169], v[26:27], v[16:17], v[164:165] op_sel:[0,1,1] op_sel_hi:[1,1,0]
	v_pk_fma_f32 v[164:165], v[26:27], v[16:17], v[164:165] op_sel:[0,1,1] op_sel_hi:[1,1,0] neg_lo:[1,0,0] neg_hi:[1,0,0]
	v_pk_mul_f32 v[16:17], v[100:101], v[6:7]
	v_mul_f32_e32 v171, v127, v4
	v_pk_fma_f32 v[158:159], v[130:131], v[158:159], v[16:17] neg_lo:[0,0,1] neg_hi:[0,0,1]
	v_pk_fma_f32 v[130:131], v[130:131], v[18:19], v[16:17]
	v_mov_b32_e32 v17, v19
	v_mov_b32_e32 v16, v4
	;; [unrolled: 1-line block ×4, first 2 shown]
	v_pk_fma_f32 v[154:155], v[154:155], v[16:17], v[156:157]
	v_pk_fma_f32 v[156:157], v[22:23], v[16:17], v[156:157] neg_lo:[0,0,1] neg_hi:[0,0,1]
	v_mov_b32_e32 v22, v117
	v_mul_f32_e32 v8, v117, v1
	v_mov_b32_e32 v117, v21
	v_mul_f32_e32 v17, v120, v7
	v_mul_f32_e32 v21, v122, v7
	v_fma_f32 v34, v14, v0, -v28
	v_pk_mul_f32 v[6:7], v[14:15], v[4:5]
	v_pk_mul_f32 v[14:15], v[10:11], v[0:1]
	v_mov_b32_e32 v122, v11
	v_mov_b32_e32 v2, v15
	v_pk_fma_f32 v[14:15], v[10:11], v[0:1], v[2:3] neg_lo:[0,0,1] neg_hi:[0,0,1]
	v_mov_b32_e32 v11, v127
	v_fma_f32 v170, v100, v18, -v108
	v_mov_b32_e32 v23, v20
	v_mul_f32_e32 v19, v20, v5
	v_fma_f32 v152, v12, v0, -v31
	v_pk_mul_f32 v[12:13], v[12:13], v[4:5]
	v_pk_mul_f32 v[10:11], v[10:11], v[4:5]
	v_mul_f32_e32 v15, v126, v5
	v_pk_mul_f32 v[4:5], v[116:117], v[4:5]
	v_fma_f32 v18, v116, v0, -v8
	v_mul_f32_e32 v8, v119, v1
	v_mov_b32_e32 v120, v0
	v_mov_b32_e32 v123, v126
	v_fma_f32 v117, v118, v0, -v8
	v_pk_fma_f32 v[100:101], v[22:23], v[0:1], v[4:5]
	v_pk_fma_f32 v[4:5], v[22:23], v[120:121], v[4:5] neg_lo:[0,0,1] neg_hi:[0,0,1]
	v_pk_fma_f32 v[26:27], v[134:135], v[0:1], v[6:7]
	v_pk_fma_f32 v[22:23], v[148:149], v[0:1], v[12:13]
	;; [unrolled: 1-line block ×3, first 2 shown]
	v_pk_fma_f32 v[10:11], v[122:123], v[120:121], v[10:11] neg_lo:[0,0,1] neg_hi:[0,0,1]
	v_mov_b32_e32 v131, v159
	v_mov_b32_e32 v1, v11
	;; [unrolled: 1-line block ×6, first 2 shown]
	v_pk_add_f32 v[122:123], v[130:131], v[0:1]
	v_pk_add_f32 v[126:127], v[130:131], v[0:1] neg_lo:[0,1] neg_hi:[0,1]
	v_pk_add_f32 v[130:131], v[132:133], v[136:137]
	v_pk_add_f32 v[132:133], v[170:171], v[14:15]
	;; [unrolled: 1-line block ×3, first 2 shown]
	v_mov_b32_e32 v1, v170
	v_mov_b32_e32 v0, v131
	;; [unrolled: 1-line block ×4, first 2 shown]
	v_pk_add_f32 v[14:15], v[0:1], v[14:15] neg_lo:[0,1] neg_hi:[0,1]
	v_mov_b32_e32 v0, v11
	v_mov_b32_e32 v1, v122
	;; [unrolled: 1-line block ×4, first 2 shown]
	v_pk_fma_f32 v[6:7], v[134:135], v[120:121], v[6:7] neg_lo:[0,0,1] neg_hi:[0,0,1]
	v_pk_fma_f32 v[12:13], v[148:149], v[120:121], v[12:13] neg_lo:[0,0,1] neg_hi:[0,0,1]
	v_pk_add_f32 v[120:121], v[168:169], v[140:141] neg_lo:[0,1] neg_hi:[0,1]
	v_pk_add_f32 v[0:1], v[0:1], v[10:11]
	v_pk_add_f32 v[142:143], v[132:133], v[130:131]
	v_mov_b32_e32 v134, v14
	v_mov_b32_e32 v135, v121
	v_mov_b32_e32 v140, v0
	v_mov_b32_e32 v141, v118
	v_mov_b32_e32 v133, v143
	v_mov_b32_e32 v10, v120
	v_mov_b32_e32 v11, v127
	v_pk_add_f32 v[134:135], v[134:135], v[126:127] neg_lo:[0,1] neg_hi:[0,1]
	v_pk_add_f32 v[140:141], v[140:141], v[132:133] neg_lo:[0,1] neg_hi:[0,1]
	v_mov_b32_e32 v131, v143
	v_pk_add_f32 v[142:143], v[142:143], v[0:1]
	v_mov_b32_e32 v1, v122
	v_pk_add_f32 v[10:11], v[10:11], v[14:15] neg_lo:[0,1] neg_hi:[0,1]
	v_pk_mul_f32 v[134:135], v[134:135], s[18:19]
	v_pk_add_f32 v[136:137], v[126:127], v[14:15]
	v_pk_add_f32 v[148:149], v[130:131], v[0:1] neg_lo:[0,1] neg_hi:[0,1]
	v_pk_add_f32 v[124:125], v[142:143], v[124:125]
	v_pk_mul_f32 v[140:141], v[140:141], s[16:17]
	s_mov_b32 s2, 0x3ee1c552
	v_pk_add_f32 v[136:137], v[136:137], v[120:121]
	v_pk_fma_f32 v[142:143], v[142:143], s[14:15], v[124:125] op_sel_hi:[1,0,1] neg_lo:[1,0,0] neg_hi:[1,0,0]
	v_pk_fma_f32 v[0:1], v[148:149], s[10:11], v[140:141]
	v_pk_fma_f32 v[158:159], v[10:11], s[12:13], v[134:135]
	v_pk_add_f32 v[0:1], v[0:1], v[142:143]
	v_pk_fma_f32 v[158:159], v[136:137], s[2:3], v[158:159] op_sel_hi:[1,0,1]
	v_mov_b32_e32 v127, v15
	v_pk_add_f32 v[168:169], v[0:1], v[158:159]
	v_pk_add_f32 v[158:159], v[0:1], v[158:159] neg_lo:[0,1] neg_hi:[0,1]
	v_lshrrev_b32_e32 v0, 2, v60
	v_mul_u32_u24_e32 v0, 28, v0
	v_or_b32_e32 v0, v0, v114
	v_lshl_add_u32 v2, v0, 3, 0
	v_lshl_add_u32 v164, v76, 3, 0
	v_mov_b32_e32 v170, v168
	v_mov_b32_e32 v171, v159
	v_pk_add_f32 v[14:15], v[126:127], v[120:121] neg_lo:[0,1] neg_hi:[0,1]
	v_mov_b32_e32 v133, v122
	v_mov_b32_e32 v131, v118
	v_pk_mul_f32 v[10:11], v[10:11], s[12:13]
	v_pk_mul_f32 v[120:121], v[148:149], s[10:11]
	ds_read_b64 v[0:1], v164
	s_waitcnt lgkmcnt(0)
	; wave barrier
	s_waitcnt lgkmcnt(0)
	ds_write2_b64 v2, v[124:125], v[170:171] offset1:4
	v_pk_add_f32 v[118:119], v[132:133], v[130:131] neg_lo:[0,1] neg_hi:[0,1]
	v_mov_b32_e32 v122, v120
	v_mov_b32_e32 v123, v141
	;; [unrolled: 1-line block ×6, first 2 shown]
	v_pk_fma_f32 v[122:123], v[118:119], s[8:9], v[122:123] op_sel_hi:[1,0,1] neg_lo:[1,0,1] neg_hi:[1,0,1]
	v_pk_fma_f32 v[124:125], v[14:15], s[6:7], v[124:125] op_sel_hi:[1,0,1] neg_lo:[1,0,1] neg_hi:[1,0,1]
	v_pk_fma_f32 v[118:119], v[118:119], s[8:9], v[140:141] op_sel_hi:[1,0,1] neg_lo:[0,0,1] neg_hi:[0,0,1]
	v_pk_fma_f32 v[10:11], v[14:15], s[6:7], v[134:135] op_sel_hi:[1,0,1] neg_lo:[0,0,1] neg_hi:[0,0,1]
	v_pk_add_f32 v[122:123], v[122:123], v[142:143]
	v_pk_fma_f32 v[124:125], v[136:137], s[2:3], v[124:125] op_sel_hi:[1,0,1]
	v_pk_add_f32 v[14:15], v[118:119], v[142:143]
	v_pk_fma_f32 v[10:11], v[136:137], s[2:3], v[10:11] op_sel_hi:[1,0,1]
	v_pk_add_f32 v[126:127], v[122:123], v[124:125]
	v_pk_add_f32 v[122:123], v[122:123], v[124:125] neg_lo:[0,1] neg_hi:[0,1]
	v_pk_add_f32 v[118:119], v[14:15], v[10:11] neg_lo:[0,1] neg_hi:[0,1]
	v_pk_add_f32 v[10:11], v[14:15], v[10:11]
	v_mov_b32_e32 v108, v147
	v_mov_b32_e32 v110, v113
	;; [unrolled: 1-line block ×12, first 2 shown]
	v_pk_add_f32 v[108:109], v[108:109], v[110:111]
	v_pk_add_f32 v[110:111], v[150:151], v[152:153]
	ds_write2_b64 v2, v[14:15], v[120:121] offset0:8 offset1:12
	ds_write2_b64 v2, v[10:11], v[122:123] offset0:16 offset1:20
	v_pk_add_f32 v[118:119], v[144:145], v[138:139]
	v_pk_add_f32 v[122:123], v[166:167], v[22:23]
	v_mov_b32_e32 v11, v150
	v_mov_b32_e32 v10, v109
	;; [unrolled: 1-line block ×4, first 2 shown]
	v_pk_add_f32 v[120:121], v[144:145], v[138:139] neg_lo:[0,1] neg_hi:[0,1]
	v_pk_add_f32 v[124:125], v[166:167], v[22:23] neg_lo:[0,1] neg_hi:[0,1]
	;; [unrolled: 1-line block ×3, first 2 shown]
	v_mov_b32_e32 v10, v13
	v_mov_b32_e32 v11, v122
	;; [unrolled: 1-line block ×4, first 2 shown]
	v_pk_add_f32 v[10:11], v[10:11], v[12:13]
	v_mov_b32_e32 v12, v120
	v_mov_b32_e32 v13, v125
	v_pk_add_f32 v[112:113], v[12:13], v[22:23] neg_lo:[0,1] neg_hi:[0,1]
	v_mov_b32_e32 v12, v22
	v_mov_b32_e32 v13, v121
	v_pk_add_f32 v[12:13], v[12:13], v[124:125] neg_lo:[0,1] neg_hi:[0,1]
	v_pk_add_f32 v[14:15], v[110:111], v[108:109]
	v_pk_mul_f32 v[126:127], v[12:13], s[18:19]
	v_pk_add_f32 v[12:13], v[124:125], v[22:23]
	v_mov_b32_e32 v111, v15
	v_pk_add_f32 v[128:129], v[12:13], v[120:121]
	v_mov_b32_e32 v12, v10
	v_mov_b32_e32 v13, v118
	v_pk_add_f32 v[12:13], v[12:13], v[110:111] neg_lo:[0,1] neg_hi:[0,1]
	v_mov_b32_e32 v109, v15
	v_pk_add_f32 v[14:15], v[14:15], v[10:11]
	v_mov_b32_e32 v11, v122
	v_mov_b32_e32 v159, v169
	v_pk_add_f32 v[130:131], v[108:109], v[10:11] neg_lo:[0,1] neg_hi:[0,1]
	v_pk_add_f32 v[10:11], v[94:95], v[14:15]
	v_pk_mul_f32 v[94:95], v[12:13], s[16:17]
	ds_write_b64 v2, v[158:159] offset:192
	v_pk_fma_f32 v[132:133], v[14:15], s[14:15], v[10:11] op_sel_hi:[1,0,1] neg_lo:[1,0,0] neg_hi:[1,0,0]
	v_pk_fma_f32 v[12:13], v[130:131], s[10:11], v[94:95]
	v_pk_fma_f32 v[14:15], v[112:113], s[12:13], v[126:127]
	v_lshrrev_b32_e32 v2, 2, v64
	v_pk_add_f32 v[12:13], v[12:13], v[132:133]
	v_pk_fma_f32 v[14:15], v[128:129], s[2:3], v[14:15] op_sel_hi:[1,0,1]
	v_mul_lo_u32 v2, v2, 28
	v_pk_add_f32 v[134:135], v[12:13], v[14:15]
	v_pk_add_f32 v[136:137], v[12:13], v[14:15] neg_lo:[0,1] neg_hi:[0,1]
	v_or_b32_e32 v2, v2, v114
	v_lshl_add_u32 v4, v2, 3, 0
	v_mov_b32_e32 v12, v134
	v_mov_b32_e32 v13, v137
	ds_write2_b64 v4, v[10:11], v[12:13] offset1:4
	v_mov_b32_e32 v10, v90
	v_mov_b32_e32 v11, v92
	;; [unrolled: 1-line block ×3, first 2 shown]
	v_pk_add_f32 v[12:13], v[10:11], v[92:93]
	v_mov_b32_e32 v15, v38
	v_mov_b32_e32 v2, v13
	v_pk_add_f32 v[10:11], v[12:13], v[2:3]
	v_mov_b32_e32 v14, v12
	v_mov_b32_e32 v12, v13
	;; [unrolled: 1-line block ×7, first 2 shown]
	v_pk_add_f32 v[12:13], v[14:15], v[12:13] neg_lo:[0,1] neg_hi:[0,1]
	v_mov_b32_e32 v157, v155
	v_mov_b32_e32 v107, v103
	v_add_f32_e32 v22, v105, v117
	v_pk_add_f32 v[14:15], v[104:105], v[116:117] neg_lo:[0,1] neg_hi:[0,1]
	v_pk_add_f32 v[90:91], v[38:39], v[98:99]
	v_mov_b32_e32 v38, v97
	v_mov_b32_e32 v39, v106
	;; [unrolled: 1-line block ×7, first 2 shown]
	v_pk_mul_f32 v[98:99], v[112:113], s[12:13]
	v_pk_mul_f32 v[104:105], v[130:131], s[10:11]
	v_pk_add_f32 v[92:93], v[156:157], v[106:107]
	v_pk_add_f32 v[36:37], v[38:39], v[36:37] neg_lo:[0,1] neg_hi:[0,1]
	v_pk_add_f32 v[38:39], v[124:125], v[120:121] neg_lo:[0,1] neg_hi:[0,1]
	;; [unrolled: 1-line block ×3, first 2 shown]
	v_mov_b32_e32 v106, v104
	v_mov_b32_e32 v107, v95
	;; [unrolled: 1-line block ×6, first 2 shown]
	v_pk_fma_f32 v[106:107], v[96:97], s[8:9], v[106:107] op_sel_hi:[1,0,1] neg_lo:[1,0,1] neg_hi:[1,0,1]
	v_pk_fma_f32 v[108:109], v[38:39], s[6:7], v[108:109] op_sel_hi:[1,0,1] neg_lo:[1,0,1] neg_hi:[1,0,1]
	;; [unrolled: 1-line block ×4, first 2 shown]
	v_pk_add_f32 v[106:107], v[106:107], v[132:133]
	v_pk_fma_f32 v[108:109], v[128:129], s[2:3], v[108:109] op_sel_hi:[1,0,1]
	v_pk_add_f32 v[94:95], v[94:95], v[132:133]
	v_pk_fma_f32 v[38:39], v[128:129], s[2:3], v[38:39] op_sel_hi:[1,0,1]
	v_pk_add_f32 v[110:111], v[106:107], v[108:109]
	v_pk_add_f32 v[106:107], v[106:107], v[108:109] neg_lo:[0,1] neg_hi:[0,1]
	v_pk_add_f32 v[98:99], v[94:95], v[38:39] neg_lo:[0,1] neg_hi:[0,1]
	v_pk_add_f32 v[104:105], v[94:95], v[38:39]
	v_mov_b32_e32 v96, v110
	v_mov_b32_e32 v97, v107
	v_mov_b32_e32 v38, v98
	v_mov_b32_e32 v39, v105
	ds_write2_b64 v4, v[96:97], v[38:39] offset0:8 offset1:12
	v_mov_b32_e32 v38, v36
	v_mov_b32_e32 v39, v13
	;; [unrolled: 1-line block ×4, first 2 shown]
	v_pk_add_f32 v[38:39], v[38:39], v[94:95] neg_lo:[0,1] neg_hi:[0,1]
	v_mov_b32_e32 v94, v12
	v_pk_add_f32 v[96:97], v[36:37], v[14:15]
	v_mov_b32_e32 v37, v15
	v_mov_b32_e32 v11, v10
	;; [unrolled: 1-line block ×4, first 2 shown]
	v_pk_add_f32 v[108:109], v[94:95], v[36:37] neg_lo:[0,1] neg_hi:[0,1]
	v_pk_add_f32 v[36:37], v[92:93], v[10:11]
	v_mov_b32_e32 v85, v47
	v_pk_add_f32 v[20:21], v[50:51], v[20:21]
	v_pk_add_f32 v[46:47], v[86:87], v[18:19]
	v_add_f32_e32 v94, v22, v90
	v_mov_b32_e32 v95, v91
	v_mov_b32_e32 v36, v92
	;; [unrolled: 1-line block ×12, first 2 shown]
	v_pk_add_f32 v[36:37], v[94:95], v[36:37]
	v_mov_b32_e32 v94, v92
	v_mov_b32_e32 v95, v10
	;; [unrolled: 1-line block ×3, first 2 shown]
	v_pk_add_f32 v[18:19], v[50:51], v[18:19] neg_lo:[0,1] neg_hi:[0,1]
	v_pk_add_f32 v[50:51], v[44:45], v[30:31]
	v_pk_add_f32 v[30:31], v[44:45], v[30:31] neg_lo:[0,1] neg_hi:[0,1]
	v_pk_add_f32 v[44:45], v[48:49], v[26:27]
	v_pk_add_f32 v[16:17], v[42:43], v[16:17]
	;; [unrolled: 1-line block ×3, first 2 shown]
	v_pk_add_f32 v[112:113], v[94:95], v[22:23] neg_lo:[0,1] neg_hi:[0,1]
	v_mov_b32_e32 v41, v40
	v_mov_b32_e32 v40, v17
	;; [unrolled: 1-line block ×8, first 2 shown]
	v_pk_add_f32 v[94:95], v[96:97], v[12:13]
	v_pk_add_f32 v[24:25], v[24:25], v[36:37]
	v_pk_mul_f32 v[96:97], v[112:113], s[16:17]
	v_pk_add_f32 v[118:119], v[90:91], v[92:93] neg_lo:[0,1] neg_hi:[0,1]
	v_mov_b32_e32 v59, v57
	v_pk_add_f32 v[34:35], v[40:41], v[34:35] neg_lo:[0,1] neg_hi:[0,1]
	v_pk_add_f32 v[56:57], v[28:29], v[16:17]
	v_pk_add_f32 v[6:7], v[6:7], v[8:9]
	v_pk_mul_f32 v[112:113], v[38:39], s[18:19]
	v_pk_fma_f32 v[116:117], v[36:37], s[14:15], v[24:25] op_sel_hi:[1,0,1] neg_lo:[1,0,0] neg_hi:[1,0,0]
	v_pk_fma_f32 v[36:37], v[118:119], s[10:11], v[96:97]
	v_pk_add_f32 v[26:27], v[48:49], v[26:27] neg_lo:[0,1] neg_hi:[0,1]
	v_mov_b32_e32 v42, v34
	v_mov_b32_e32 v43, v31
	;; [unrolled: 1-line block ×4, first 2 shown]
	v_pk_add_f32 v[38:39], v[36:37], v[116:117]
	v_pk_fma_f32 v[36:37], v[108:109], s[12:13], v[112:113]
	v_mov_b32_e32 v40, v30
	v_mov_b32_e32 v41, v27
	v_pk_add_f32 v[42:43], v[42:43], v[26:27] neg_lo:[0,1] neg_hi:[0,1]
	v_pk_add_f32 v[8:9], v[8:9], v[28:29] neg_lo:[0,1] neg_hi:[0,1]
	v_mov_b32_e32 v17, v57
	v_pk_add_f32 v[56:57], v[56:57], v[6:7]
	v_mov_b32_e32 v7, v44
	v_pk_fma_f32 v[120:121], v[94:95], s[2:3], v[36:37] op_sel_hi:[1,0,1]
	v_pk_add_f32 v[40:41], v[40:41], v[34:35] neg_lo:[0,1] neg_hi:[0,1]
	v_pk_mul_f32 v[42:43], v[42:43], s[18:19]
	v_pk_add_f32 v[48:49], v[26:27], v[34:35]
	v_pk_add_f32 v[6:7], v[16:17], v[6:7] neg_lo:[0,1] neg_hi:[0,1]
	v_pk_add_f32 v[54:55], v[54:55], v[56:57]
	v_pk_mul_f32 v[8:9], v[8:9], s[16:17]
	v_pk_add_f32 v[36:37], v[38:39], v[120:121] neg_lo:[0,1] neg_hi:[0,1]
	v_pk_add_f32 v[38:39], v[38:39], v[120:121]
	v_pk_add_f32 v[120:121], v[84:85], v[58:59]
	v_pk_add_f32 v[58:59], v[84:85], v[58:59] neg_lo:[0,1] neg_hi:[0,1]
	v_lshrrev_b32_e32 v2, 2, v80
	v_pk_add_f32 v[48:49], v[48:49], v[30:31]
	v_pk_fma_f32 v[56:57], v[56:57], s[14:15], v[54:55] op_sel_hi:[1,0,1] neg_lo:[1,0,0] neg_hi:[1,0,0]
	v_pk_fma_f32 v[84:85], v[6:7], s[10:11], v[8:9]
	v_pk_fma_f32 v[86:87], v[40:41], s[12:13], v[42:43]
	v_mov_b32_e32 v89, v3
	v_mov_b32_e32 v101, v5
	v_mul_lo_u32 v2, v2, 28
	v_pk_add_f32 v[84:85], v[84:85], v[56:57]
	v_pk_fma_f32 v[86:87], v[48:49], s[2:3], v[86:87] op_sel_hi:[1,0,1]
	v_pk_add_f32 v[122:123], v[88:89], v[100:101]
	v_pk_add_f32 v[88:89], v[88:89], v[100:101] neg_lo:[0,1] neg_hi:[0,1]
	v_or_b32_e32 v2, v2, v114
	v_mov_b32_e32 v105, v99
	v_pk_add_f32 v[98:99], v[84:85], v[86:87]
	v_pk_add_f32 v[100:101], v[84:85], v[86:87] neg_lo:[0,1] neg_hi:[0,1]
	v_lshl_add_u32 v11, v2, 3, 0
	v_mov_b32_e32 v107, v111
	v_mov_b32_e32 v137, v135
	;; [unrolled: 1-line block ×4, first 2 shown]
	ds_write2_b64 v4, v[104:105], v[106:107] offset0:16 offset1:20
	ds_write_b64 v4, v[136:137] offset:192
	ds_write2_b64 v11, v[54:55], v[84:85] offset1:4
	v_mov_b32_e32 v84, v18
	v_mov_b32_e32 v85, v59
	;; [unrolled: 1-line block ×6, first 2 shown]
	v_pk_add_f32 v[84:85], v[84:85], v[88:89] neg_lo:[0,1] neg_hi:[0,1]
	v_pk_add_f32 v[2:3], v[4:5], v[2:3]
	v_pk_add_f32 v[86:87], v[46:47], v[20:21]
	v_mov_b32_e32 v27, v35
	v_pk_mul_f32 v[104:105], v[84:85], s[18:19]
	v_mov_b32_e32 v84, v2
	v_mov_b32_e32 v85, v120
	;; [unrolled: 1-line block ×3, first 2 shown]
	v_pk_add_f32 v[26:27], v[26:27], v[30:31] neg_lo:[0,1] neg_hi:[0,1]
	v_mov_b32_e32 v29, v44
	v_mov_b32_e32 v17, v50
	v_pk_mul_f32 v[30:31], v[40:41], s[12:13]
	v_pk_mul_f32 v[6:7], v[6:7], s[10:11]
	v_mov_b32_e32 v54, v58
	v_mov_b32_e32 v55, v89
	v_pk_add_f32 v[84:85], v[84:85], v[46:47] neg_lo:[0,1] neg_hi:[0,1]
	v_mov_b32_e32 v21, v87
	v_pk_add_f32 v[86:87], v[86:87], v[2:3]
	v_mov_b32_e32 v3, v122
	v_pk_add_f32 v[16:17], v[28:29], v[16:17] neg_lo:[0,1] neg_hi:[0,1]
	v_mov_b32_e32 v28, v6
	v_mov_b32_e32 v29, v9
	;; [unrolled: 1-line block ×6, first 2 shown]
	v_pk_add_f32 v[54:55], v[54:55], v[18:19] neg_lo:[0,1] neg_hi:[0,1]
	v_pk_add_f32 v[4:5], v[88:89], v[18:19]
	v_pk_add_f32 v[2:3], v[20:21], v[2:3] neg_lo:[0,1] neg_hi:[0,1]
	v_pk_add_f32 v[0:1], v[0:1], v[86:87]
	v_pk_mul_f32 v[106:107], v[84:85], s[16:17]
	v_pk_fma_f32 v[28:29], v[16:17], s[8:9], v[28:29] op_sel_hi:[1,0,1] neg_lo:[1,0,1] neg_hi:[1,0,1]
	v_pk_fma_f32 v[34:35], v[26:27], s[6:7], v[34:35] op_sel_hi:[1,0,1] neg_lo:[1,0,1] neg_hi:[1,0,1]
	;; [unrolled: 1-line block ×4, first 2 shown]
	v_pk_add_f32 v[4:5], v[4:5], v[58:59]
	v_pk_fma_f32 v[110:111], v[86:87], s[14:15], v[0:1] op_sel_hi:[1,0,1] neg_lo:[1,0,0] neg_hi:[1,0,0]
	v_pk_fma_f32 v[84:85], v[2:3], s[10:11], v[106:107]
	v_pk_fma_f32 v[86:87], v[54:55], s[12:13], v[104:105]
	v_pk_add_f32 v[28:29], v[28:29], v[56:57]
	v_pk_fma_f32 v[34:35], v[48:49], s[2:3], v[34:35] op_sel_hi:[1,0,1]
	v_lshrrev_b32_e32 v18, 2, v76
	v_pk_add_f32 v[6:7], v[6:7], v[56:57]
	v_pk_fma_f32 v[26:27], v[48:49], s[2:3], v[26:27] op_sel_hi:[1,0,1]
	v_pk_add_f32 v[84:85], v[84:85], v[110:111]
	v_pk_fma_f32 v[86:87], v[4:5], s[2:3], v[86:87] op_sel_hi:[1,0,1]
	v_pk_add_f32 v[40:41], v[28:29], v[34:35]
	v_pk_add_f32 v[28:29], v[28:29], v[34:35] neg_lo:[0,1] neg_hi:[0,1]
	v_mul_lo_u32 v18, v18, 28
	v_pk_add_f32 v[42:43], v[6:7], v[26:27] neg_lo:[0,1] neg_hi:[0,1]
	v_pk_add_f32 v[6:7], v[6:7], v[26:27]
	v_pk_add_f32 v[124:125], v[84:85], v[86:87]
	v_pk_add_f32 v[126:127], v[84:85], v[86:87] neg_lo:[0,1] neg_hi:[0,1]
	v_or_b32_e32 v18, v18, v114
	v_mov_b32_e32 v35, v29
	v_mov_b32_e32 v27, v7
	;; [unrolled: 1-line block ×4, first 2 shown]
	v_lshl_add_u32 v23, v18, 3, 0
	v_pk_mul_f32 v[30:31], v[54:55], s[12:13]
	v_pk_mul_f32 v[2:3], v[2:3], s[10:11]
	v_mov_b32_e32 v34, v40
	v_mov_b32_e32 v26, v42
	ds_write2_b64 v11, v[6:7], v[28:29] offset0:16 offset1:20
	v_mov_b32_e32 v101, v99
	v_mov_b32_e32 v6, v124
	;; [unrolled: 1-line block ×6, first 2 shown]
	ds_write2_b64 v11, v[34:35], v[26:27] offset0:8 offset1:12
	ds_write_b64 v11, v[100:101] offset:192
	ds_write2_b64 v23, v[0:1], v[6:7] offset1:4
	v_pk_add_f32 v[0:1], v[88:89], v[58:59] neg_lo:[0,1] neg_hi:[0,1]
	v_pk_add_f32 v[6:7], v[46:47], v[20:21] neg_lo:[0,1] neg_hi:[0,1]
	v_mov_b32_e32 v18, v2
	v_mov_b32_e32 v19, v107
	;; [unrolled: 1-line block ×6, first 2 shown]
	v_pk_fma_f32 v[18:19], v[6:7], s[8:9], v[18:19] op_sel_hi:[1,0,1] neg_lo:[1,0,1] neg_hi:[1,0,1]
	v_pk_fma_f32 v[20:21], v[0:1], s[6:7], v[20:21] op_sel_hi:[1,0,1] neg_lo:[1,0,1] neg_hi:[1,0,1]
	;; [unrolled: 1-line block ×4, first 2 shown]
	v_pk_add_f32 v[18:19], v[18:19], v[110:111]
	v_pk_fma_f32 v[20:21], v[4:5], s[2:3], v[20:21] op_sel_hi:[1,0,1]
	v_pk_add_f32 v[2:3], v[2:3], v[110:111]
	v_pk_fma_f32 v[0:1], v[4:5], s[2:3], v[0:1] op_sel_hi:[1,0,1]
	v_pk_add_f32 v[26:27], v[18:19], v[20:21]
	v_pk_add_f32 v[18:19], v[18:19], v[20:21] neg_lo:[0,1] neg_hi:[0,1]
	v_pk_add_f32 v[4:5], v[2:3], v[0:1] neg_lo:[0,1] neg_hi:[0,1]
	v_pk_add_f32 v[0:1], v[2:3], v[0:1]
	v_mov_b32_e32 v21, v19
	v_mov_b32_e32 v3, v1
	;; [unrolled: 1-line block ×4, first 2 shown]
	ds_write2_b64 v23, v[0:1], v[18:19] offset0:16 offset1:20
	v_lshrrev_b32_e32 v0, 2, v78
	v_mul_lo_u32 v0, v0, 28
	v_mov_b32_e32 v20, v26
	v_mov_b32_e32 v2, v4
	v_mov_b32_e32 v127, v125
	v_or_b32_e32 v0, v0, v114
	v_pk_mul_f32 v[8:9], v[118:119], s[10:11]
	v_pk_mul_f32 v[16:17], v[108:109], s[12:13]
	ds_write2_b64 v23, v[20:21], v[2:3] offset0:8 offset1:12
	ds_write_b64 v23, v[126:127] offset:192
	v_lshl_add_u32 v18, v0, 3, 0
	v_mov_b32_e32 v0, v38
	v_mov_b32_e32 v1, v37
	;; [unrolled: 1-line block ×4, first 2 shown]
	ds_write2_b64 v18, v[24:25], v[0:1] offset1:4
	v_pk_add_f32 v[0:1], v[22:23], v[90:91] neg_lo:[0,1] neg_hi:[0,1]
	v_pk_add_f32 v[2:3], v[14:15], v[12:13] neg_lo:[0,1] neg_hi:[0,1]
	v_mov_b32_e32 v4, v8
	v_mov_b32_e32 v5, v97
	;; [unrolled: 1-line block ×6, first 2 shown]
	v_pk_fma_f32 v[4:5], v[0:1], s[8:9], v[4:5] op_sel_hi:[1,0,1] neg_lo:[1,0,1] neg_hi:[1,0,1]
	v_pk_fma_f32 v[6:7], v[2:3], s[6:7], v[6:7] op_sel_hi:[1,0,1] neg_lo:[1,0,1] neg_hi:[1,0,1]
	v_pk_fma_f32 v[0:1], v[0:1], s[8:9], v[96:97] op_sel_hi:[1,0,1] neg_lo:[0,0,1] neg_hi:[0,0,1]
	v_pk_fma_f32 v[2:3], v[2:3], s[6:7], v[112:113] op_sel_hi:[1,0,1] neg_lo:[0,0,1] neg_hi:[0,0,1]
	v_pk_add_f32 v[4:5], v[4:5], v[116:117]
	v_pk_fma_f32 v[6:7], v[94:95], s[2:3], v[6:7] op_sel_hi:[1,0,1]
	v_pk_add_f32 v[0:1], v[0:1], v[116:117]
	v_pk_fma_f32 v[2:3], v[94:95], s[2:3], v[2:3] op_sel_hi:[1,0,1]
	v_pk_add_f32 v[10:11], v[4:5], v[6:7]
	v_pk_add_f32 v[4:5], v[4:5], v[6:7] neg_lo:[0,1] neg_hi:[0,1]
	v_pk_add_f32 v[8:9], v[0:1], v[2:3] neg_lo:[0,1] neg_hi:[0,1]
	v_pk_add_f32 v[0:1], v[0:1], v[2:3]
	v_add_u32_e32 v86, 0x268, v60
	v_add_u32_e32 v84, 0x310, v60
	v_mov_b32_e32 v6, v10
	v_mov_b32_e32 v7, v5
	;; [unrolled: 1-line block ×7, first 2 shown]
	v_lshl_add_u32 v85, v70, 3, 0
	v_add_u32_e32 v88, 0x2d8, v60
	v_add_u32_e32 v90, 0x2a0, v60
	ds_write2_b64 v18, v[6:7], v[2:3] offset0:8 offset1:12
	ds_write2_b64 v18, v[0:1], v[4:5] offset0:16 offset1:20
	ds_write_b64 v18, v[36:37] offset:192
	s_waitcnt lgkmcnt(0)
	; wave barrier
	s_waitcnt lgkmcnt(0)
	ds_read_b32 v38, v160 offset:7844
	ds_read2_b64 v[0:3], v73 offset0:128 offset1:212
	ds_read2_b64 v[24:27], v81 offset0:12 offset1:68
	;; [unrolled: 1-line block ×4, first 2 shown]
	v_lshl_add_u32 v89, v66, 3, 0
	v_lshl_add_u32 v87, v72, 3, 0
	ds_read_b64 v[98:99], v164
	ds_read_b64 v[96:97], v163
	;; [unrolled: 1-line block ×4, first 2 shown]
	ds_read2_b64 v[20:23], v71 offset0:92 offset1:148
	ds_read2_b64 v[16:19], v79 offset0:76 offset1:132
	ds_read_b64 v[50:51], v162
	v_lshl_add_u32 v167, v86, 3, 0
	ds_read2_b64 v[12:15], v77 offset0:60 offset1:116
	v_lshl_add_u32 v93, v90, 3, 0
	v_lshl_add_u32 v166, v88, 3, 0
	ds_read_b64 v[58:59], v85
	ds_read_b64 v[48:49], v167
	;; [unrolled: 1-line block ×4, first 2 shown]
	ds_read2_b64 v[8:11], v77 offset0:172 offset1:228
	v_lshl_add_u32 v165, v84, 3, 0
	ds_read_b64 v[54:55], v160 offset:4032
	ds_read_b64 v[108:109], v160
	ds_read_b64 v[102:103], v102
	;; [unrolled: 1-line block ×6, first 2 shown]
	ds_read2_b64 v[4:7], v65 offset0:28 offset1:84
	s_and_saveexec_b64 s[2:3], vcc
	s_cbranch_execz .LBB0_17
; %bb.16:
	ds_read_b64 v[36:37], v160 offset:7616
	ds_read_b64 v[52:53], v160 offset:15456
	s_waitcnt lgkmcnt(1)
	v_mov_b32_e32 v39, v37
.LBB0_17:
	s_or_b64 exec, exec, s[2:3]
	v_lshrrev_b16_e32 v37, 2, v68
	v_lshrrev_b16_e32 v79, 2, v80
	v_mul_u32_u24_e32 v37, 0x4925, v37
	v_and_b32_e32 v79, 63, v79
	v_lshrrev_b32_e32 v65, 17, v37
	v_mov_b32_e32 v77, 28
	v_mul_lo_u16_e32 v79, 37, v79
	v_mul_lo_u16_e32 v37, 28, v65
	v_mul_lo_u16_sdwa v94, v79, v77 dst_sel:DWORD dst_unused:UNUSED_PAD src0_sel:BYTE_1 src1_sel:DWORD
	v_sub_u16_e32 v71, v68, v37
	v_lshrrev_b16_e32 v37, 2, v66
	v_mov_b32_e32 v92, 3
	v_sub_u16_e32 v94, v80, v94
	v_mul_u32_u24_e32 v37, 0x4925, v37
	v_lshrrev_b16_e32 v81, 2, v76
	v_lshrrev_b16_e32 v91, 2, v69
	v_lshlrev_b32_sdwa v146, v92, v94 dst_sel:DWORD dst_unused:UNUSED_PAD src0_sel:DWORD src1_sel:BYTE_0
	v_lshrrev_b16_e32 v94, 2, v64
	v_lshrrev_b32_e32 v37, 17, v37
	v_and_b32_e32 v81, 63, v81
	v_mul_u32_u24_e32 v91, 0x4925, v91
	v_and_b32_e32 v94, 63, v94
	v_mul_lo_u16_e32 v73, 28, v37
	v_mul_lo_u16_e32 v81, 37, v81
	v_lshrrev_b32_e32 v91, 17, v91
	v_mul_lo_u16_e32 v147, 37, v94
	v_sub_u16_e32 v73, v66, v73
	v_mul_lo_u16_sdwa v95, v81, v77 dst_sel:DWORD dst_unused:UNUSED_PAD src0_sel:BYTE_1 src1_sel:DWORD
	v_mul_lo_u16_e32 v110, 28, v91
	v_mul_lo_u16_sdwa v77, v147, v77 dst_sel:DWORD dst_unused:UNUSED_PAD src0_sel:BYTE_1 src1_sel:DWORD
	v_lshlrev_b32_e32 v71, 3, v71
	v_lshlrev_b32_e32 v73, 3, v73
	v_sub_u16_e32 v110, v69, v110
	v_sub_u16_e32 v95, v76, v95
	;; [unrolled: 1-line block ×3, first 2 shown]
	global_load_dwordx2 v[116:117], v73, s[4:5] offset:192
	v_lshlrev_b32_e32 v144, 3, v110
	v_lshlrev_b32_sdwa v145, v92, v95 dst_sel:DWORD dst_unused:UNUSED_PAD src0_sel:DWORD src1_sel:BYTE_0
	global_load_dwordx2 v[122:123], v71, s[4:5] offset:192
	global_load_dwordx2 v[120:121], v144, s[4:5] offset:192
	;; [unrolled: 1-line block ×4, first 2 shown]
	v_lshlrev_b32_sdwa v77, v92, v77 dst_sel:DWORD dst_unused:UNUSED_PAD src0_sel:DWORD src1_sel:BYTE_0
	global_load_dwordx2 v[126:127], v77, s[4:5] offset:192
	v_subrev_u32_e32 v92, 28, v60
	v_cndmask_b32_e32 v94, v92, v60, vcc
	v_mov_b32_e32 v95, 0
	v_lshl_add_u64 v[110:111], v[94:95], 3, s[4:5]
	global_load_dwordx2 v[128:129], v[110:111], off offset:192
	v_lshrrev_b16_e32 v110, 2, v84
	v_lshrrev_b16_e32 v111, 2, v74
	v_or_b32_e32 v92, 0x380, v60
	v_mul_u32_u24_e32 v110, 0x4925, v110
	v_mul_u32_u24_e32 v111, 0x4925, v111
	v_lshrrev_b16_e32 v112, 2, v92
	v_cmp_lt_u32_e64 s[2:3], 27, v60
	v_lshrrev_b32_e32 v148, 17, v110
	v_lshrrev_b32_e32 v149, 17, v111
	v_mul_u32_u24_e32 v110, 0x4925, v112
	v_mul_lo_u16_e32 v111, 28, v148
	v_mul_lo_u16_e32 v112, 28, v149
	v_lshrrev_b32_e32 v150, 17, v110
	v_sub_u16_e32 v110, v84, v111
	v_sub_u16_e32 v111, v74, v112
	v_mul_lo_u16_e32 v112, 28, v150
	v_lshlrev_b32_e32 v151, 3, v110
	v_sub_u16_e32 v110, v92, v112
	v_lshlrev_b32_e32 v152, 3, v111
	v_lshlrev_b32_e32 v153, 3, v110
	global_load_dwordx2 v[114:115], v151, s[4:5] offset:192
	global_load_dwordx2 v[112:113], v152, s[4:5] offset:192
	;; [unrolled: 1-line block ×3, first 2 shown]
	s_waitcnt vmcnt(8) lgkmcnt(14)
	v_pk_mul_f32 v[132:133], v[122:123], v[32:33] op_sel:[0,1]
	v_pk_mul_f32 v[130:131], v[116:117], v[34:35] op_sel:[0,1]
	s_waitcnt vmcnt(7)
	v_pk_mul_f32 v[134:135], v[120:121], v[30:31] op_sel:[0,1]
	s_waitcnt vmcnt(5)
	v_pk_mul_f32 v[138:139], v[124:125], v[26:27] op_sel:[0,1]
	v_pk_fma_f32 v[142:143], v[116:117], v[34:35], v[130:131] op_sel:[0,0,1] op_sel_hi:[1,1,0] neg_lo:[0,0,1] neg_hi:[0,0,1]
	s_waitcnt vmcnt(4)
	v_pk_mul_f32 v[140:141], v[126:127], v[24:25] op_sel:[0,1]
	v_pk_fma_f32 v[34:35], v[116:117], v[34:35], v[130:131] op_sel:[0,0,1] op_sel_hi:[1,0,0]
	v_pk_fma_f32 v[116:117], v[122:123], v[32:33], v[132:133] op_sel:[0,0,1] op_sel_hi:[1,1,0] neg_lo:[0,0,1] neg_hi:[0,0,1]
	v_pk_fma_f32 v[32:33], v[122:123], v[32:33], v[132:133] op_sel:[0,0,1] op_sel_hi:[1,0,0]
	v_pk_fma_f32 v[132:133], v[124:125], v[26:27], v[138:139] op_sel:[0,0,1] op_sel_hi:[1,1,0] neg_lo:[0,0,1] neg_hi:[0,0,1]
	v_pk_fma_f32 v[124:125], v[124:125], v[26:27], v[138:139] op_sel:[0,0,1] op_sel_hi:[1,0,0]
	v_lshrrev_b16_e32 v26, 2, v67
	v_pk_fma_f32 v[122:123], v[120:121], v[30:31], v[134:135] op_sel:[0,0,1] op_sel_hi:[1,1,0] neg_lo:[0,0,1] neg_hi:[0,0,1]
	v_pk_fma_f32 v[120:121], v[120:121], v[30:31], v[134:135] op_sel:[0,0,1] op_sel_hi:[1,0,0]
	v_pk_fma_f32 v[134:135], v[126:127], v[24:25], v[140:141] op_sel:[0,0,1] op_sel_hi:[1,1,0] neg_lo:[0,0,1] neg_hi:[0,0,1]
	v_pk_fma_f32 v[126:127], v[126:127], v[24:25], v[140:141] op_sel:[0,0,1] op_sel_hi:[1,0,0]
	v_add_u32_e32 v24, 0x1f8, v60
	v_mul_u32_u24_e32 v26, 0x4925, v26
	v_pk_mul_f32 v[136:137], v[118:119], v[28:29] op_sel:[0,1]
	v_lshrrev_b16_e32 v25, 2, v24
	v_lshrrev_b32_e32 v140, 17, v26
	v_pk_fma_f32 v[130:131], v[118:119], v[28:29], v[136:137] op_sel:[0,0,1] op_sel_hi:[1,1,0] neg_lo:[0,0,1] neg_hi:[0,0,1]
	v_pk_fma_f32 v[118:119], v[118:119], v[28:29], v[136:137] op_sel:[0,0,1] op_sel_hi:[1,0,0]
	v_mul_u32_u24_e32 v25, 0x4925, v25
	v_mul_lo_u16_e32 v26, 28, v140
	v_lshrrev_b32_e32 v118, 17, v25
	v_sub_u16_e32 v26, v67, v26
	v_mul_lo_u16_e32 v25, 28, v118
	v_lshlrev_b32_e32 v67, 3, v26
	s_waitcnt vmcnt(3)
	v_pk_mul_f32 v[26:27], v[38:39], v[128:129] op_sel_hi:[0,1]
	v_sub_u16_e32 v24, v24, v25
	v_lshrrev_b16_e32 v25, 2, v70
	v_pk_fma_f32 v[28:29], v[128:129], v[2:3], v[26:27] op_sel:[0,0,1] op_sel_hi:[1,1,0] neg_lo:[0,0,1] neg_hi:[0,0,1]
	v_pk_fma_f32 v[2:3], v[128:129], v[2:3], v[26:27] op_sel:[0,0,1] op_sel_hi:[1,0,0]
	v_mul_u32_u24_e32 v25, 0x4925, v25
	v_mov_b32_e32 v2, 0x1c0
	v_lshrrev_b32_e32 v120, 17, v25
	v_mov_b32_e32 v29, v3
	v_cndmask_b32_e64 v2, 0, v2, s[2:3]
	v_lshlrev_b32_e32 v3, 3, v94
	v_mul_lo_u16_e32 v25, 28, v120
	v_add3_u32 v32, 0, v2, v3
	v_lshrrev_b16_e32 v2, 2, v82
	v_sub_u16_e32 v25, v70, v25
	v_mul_u32_u24_e32 v2, 0x4925, v2
	v_lshlrev_b32_e32 v124, 3, v25
	v_lshlrev_b32_e32 v126, 3, v24
	v_lshrrev_b32_e32 v38, 17, v2
	global_load_dwordx2 v[24:25], v126, s[4:5] offset:192
	global_load_dwordx2 v[136:137], v124, s[4:5] offset:192
	;; [unrolled: 1-line block ×3, first 2 shown]
	v_mul_lo_u16_e32 v2, 28, v38
	v_sub_u16_e32 v2, v82, v2
	v_lshlrev_b32_e32 v94, 3, v2
	v_lshrrev_b16_e32 v2, 2, v86
	v_mul_u32_u24_e32 v2, 0x4925, v2
	v_lshrrev_b32_e32 v141, 17, v2
	v_mul_lo_u16_e32 v2, 28, v141
	v_sub_u16_e32 v2, v86, v2
	v_lshlrev_b32_e32 v154, 3, v2
	v_lshrrev_b16_e32 v2, 2, v90
	v_mul_u32_u24_e32 v2, 0x4925, v2
	v_lshrrev_b32_e32 v155, 17, v2
	;; [unrolled: 6-line block ×3, first 2 shown]
	v_mul_lo_u16_e32 v2, 28, v157
	v_sub_u16_e32 v2, v88, v2
	v_lshlrev_b32_e32 v158, 3, v2
	s_waitcnt lgkmcnt(6)
	v_pk_add_f32 v[128:129], v[108:109], v[28:29] neg_lo:[0,1] neg_hi:[0,1]
	global_load_dwordx2 v[30:31], v94, s[4:5] offset:192
	global_load_dwordx2 v[28:29], v154, s[4:5] offset:192
	;; [unrolled: 1-line block ×4, first 2 shown]
	v_pk_fma_f32 v[108:109], v[108:109], 2.0, v[128:129] op_sel_hi:[1,0,1] neg_lo:[0,0,1] neg_hi:[0,0,1]
	v_mov_b32_e32 v135, v127
	s_movk_i32 s2, 0x1c0
	s_waitcnt lgkmcnt(0)
	; wave barrier
	s_waitcnt lgkmcnt(0)
	ds_write2_b64 v32, v[108:109], v[128:129] offset1:28
	v_mul_u32_u24_sdwa v32, v147, s2 dst_sel:DWORD dst_unused:UNUSED_PAD src0_sel:BYTE_1 src1_sel:DWORD
	v_pk_add_f32 v[108:109], v[106:107], v[134:135] neg_lo:[0,1] neg_hi:[0,1]
	v_add3_u32 v32, 0, v32, v77
	v_pk_fma_f32 v[106:107], v[106:107], 2.0, v[108:109] op_sel_hi:[1,0,1] neg_lo:[0,0,1] neg_hi:[0,0,1]
	v_mov_b32_e32 v133, v125
	ds_write2_b64 v32, v[106:107], v[108:109] offset1:28
	v_mul_u32_u24_sdwa v32, v79, s2 dst_sel:DWORD dst_unused:UNUSED_PAD src0_sel:BYTE_1 src1_sel:DWORD
	v_pk_add_f32 v[106:107], v[104:105], v[132:133] neg_lo:[0,1] neg_hi:[0,1]
	v_add3_u32 v32, 0, v32, v146
	v_pk_fma_f32 v[104:105], v[104:105], 2.0, v[106:107] op_sel_hi:[1,0,1] neg_lo:[0,0,1] neg_hi:[0,0,1]
	v_mov_b32_e32 v131, v119
	ds_write2_b64 v32, v[104:105], v[106:107] offset1:28
	v_mul_u32_u24_sdwa v32, v81, s2 dst_sel:DWORD dst_unused:UNUSED_PAD src0_sel:BYTE_1 src1_sel:DWORD
	v_pk_add_f32 v[104:105], v[98:99], v[130:131] neg_lo:[0,1] neg_hi:[0,1]
	v_add3_u32 v32, 0, v32, v145
	v_pk_fma_f32 v[98:99], v[98:99], 2.0, v[104:105] op_sel_hi:[1,0,1] neg_lo:[0,0,1] neg_hi:[0,0,1]
	s_mov_b32 s3, 0x5040100
	ds_write2_b64 v32, v[98:99], v[104:105] offset1:28
	v_perm_b32 v32, v91, v65, s3
	v_mov_b32_e32 v123, v121
	v_pk_mul_lo_u16 v32, v32, s2 op_sel_hi:[1,0]
	v_pk_add_f32 v[98:99], v[96:97], v[122:123] neg_lo:[0,1] neg_hi:[0,1]
	v_lshrrev_b32_e32 v34, 16, v32
	v_add3_u32 v34, 0, v34, v144
	v_pk_fma_f32 v[96:97], v[96:97], 2.0, v[98:99] op_sel_hi:[1,0,1] neg_lo:[0,0,1] neg_hi:[0,0,1]
	v_mov_b32_e32 v117, v33
	v_and_b32_e32 v32, 0xffc0, v32
	ds_write2_b64 v34, v[96:97], v[98:99] offset1:28
	v_add3_u32 v34, 0, v32, v71
	v_pk_add_f32 v[32:33], v[102:103], v[116:117] neg_lo:[0,1] neg_hi:[0,1]
	v_perm_b32 v37, v140, v37, s3
	v_pk_fma_f32 v[96:97], v[102:103], 2.0, v[32:33] op_sel_hi:[1,0,1] neg_lo:[0,0,1] neg_hi:[0,0,1]
	v_mov_b32_e32 v143, v35
	v_pk_mul_lo_u16 v37, v37, s2 op_sel_hi:[1,0]
	ds_write2_b64 v34, v[96:97], v[32:33] offset1:28
	v_pk_add_f32 v[32:33], v[100:101], v[142:143] neg_lo:[0,1] neg_hi:[0,1]
	v_and_b32_e32 v65, 0xffc0, v37
	v_pk_fma_f32 v[34:35], v[100:101], 2.0, v[32:33] op_sel_hi:[1,0,1] neg_lo:[0,0,1] neg_hi:[0,0,1]
	v_add3_u32 v65, 0, v65, v73
	ds_write2_b64 v65, v[34:35], v[32:33] offset1:28
	v_lshlrev_b32_e32 v98, 2, v64
	v_lshlrev_b32_e32 v96, 2, v80
	;; [unrolled: 1-line block ×6, first 2 shown]
	s_waitcnt vmcnt(4)
	v_pk_mul_f32 v[32:33], v[20:21], v[138:139] op_sel:[0,1]
	s_nop 0
	v_pk_fma_f32 v[34:35], v[20:21], v[138:139], v[32:33] op_sel:[0,0,1] op_sel_hi:[1,1,0] neg_lo:[0,0,1] neg_hi:[0,0,1]
	v_pk_fma_f32 v[20:21], v[20:21], v[138:139], v[32:33] op_sel:[0,0,1] op_sel_hi:[1,0,0]
	v_pk_mul_f32 v[32:33], v[22:23], v[136:137] op_sel:[0,1]
	v_mov_b32_e32 v35, v21
	v_pk_fma_f32 v[108:109], v[22:23], v[136:137], v[32:33] op_sel:[0,0,1] op_sel_hi:[1,1,0] neg_lo:[0,0,1] neg_hi:[0,0,1]
	v_pk_fma_f32 v[22:23], v[22:23], v[136:137], v[32:33] op_sel:[0,0,1] op_sel_hi:[1,0,0]
	v_lshrrev_b32_e32 v20, 16, v37
	v_pk_add_f32 v[32:33], v[56:57], v[34:35] neg_lo:[0,1] neg_hi:[0,1]
	v_add3_u32 v21, 0, v20, v67
	v_pk_fma_f32 v[34:35], v[56:57], 2.0, v[32:33] op_sel_hi:[1,0,1] neg_lo:[0,0,1] neg_hi:[0,0,1]
	ds_write2_b64 v21, v[34:35], v[32:33] offset1:28
	v_perm_b32 v21, v118, v120, s3
	v_mov_b32_e32 v109, v23
	v_pk_mul_lo_u16 v21, v21, s2 op_sel_hi:[1,0]
	v_pk_add_f32 v[22:23], v[58:59], v[108:109] neg_lo:[0,1] neg_hi:[0,1]
	v_and_b32_e32 v34, 0xffc0, v21
	v_pk_fma_f32 v[32:33], v[58:59], 2.0, v[22:23] op_sel_hi:[1,0,1] neg_lo:[0,0,1] neg_hi:[0,0,1]
	v_add3_u32 v34, 0, v34, v124
	ds_write2_b64 v34, v[32:33], v[22:23] offset1:28
	v_pk_mul_f32 v[22:23], v[16:17], v[24:25] op_sel:[0,1]
	v_lshrrev_b32_e32 v21, 16, v21
	v_pk_fma_f32 v[32:33], v[16:17], v[24:25], v[22:23] op_sel:[0,0,1] op_sel_hi:[1,1,0] neg_lo:[0,0,1] neg_hi:[0,0,1]
	v_pk_fma_f32 v[16:17], v[16:17], v[24:25], v[22:23] op_sel:[0,0,1] op_sel_hi:[1,0,0]
	v_add3_u32 v21, 0, v21, v126
	v_mov_b32_e32 v33, v17
	v_pk_add_f32 v[16:17], v[54:55], v[32:33] neg_lo:[0,1] neg_hi:[0,1]
	v_mul_i32_i24_e32 v20, 0xffffffe8, v68
	v_pk_fma_f32 v[22:23], v[54:55], 2.0, v[16:17] op_sel_hi:[1,0,1] neg_lo:[0,0,1] neg_hi:[0,0,1]
	ds_write2_b64 v21, v[22:23], v[16:17] offset1:28
	s_waitcnt vmcnt(3)
	v_pk_mul_f32 v[16:17], v[18:19], v[30:31] op_sel:[0,1]
	v_perm_b32 v21, v141, v38, s3
	v_pk_fma_f32 v[22:23], v[18:19], v[30:31], v[16:17] op_sel:[0,0,1] op_sel_hi:[1,1,0] neg_lo:[0,0,1] neg_hi:[0,0,1]
	v_pk_fma_f32 v[16:17], v[18:19], v[30:31], v[16:17] op_sel:[0,0,1] op_sel_hi:[1,0,0]
	v_pk_mul_lo_u16 v21, v21, s2 op_sel_hi:[1,0]
	v_mov_b32_e32 v23, v17
	v_pk_add_f32 v[16:17], v[50:51], v[22:23] neg_lo:[0,1] neg_hi:[0,1]
	v_and_b32_e32 v22, 0xffc0, v21
	v_pk_fma_f32 v[18:19], v[50:51], 2.0, v[16:17] op_sel_hi:[1,0,1] neg_lo:[0,0,1] neg_hi:[0,0,1]
	v_add3_u32 v22, 0, v22, v94
	ds_write2_b64 v22, v[18:19], v[16:17] offset1:28
	v_lshrrev_b32_e32 v16, 16, v21
	v_add3_u32 v21, 0, v16, v154
	s_waitcnt vmcnt(2)
	v_pk_mul_f32 v[16:17], v[12:13], v[28:29] op_sel:[0,1]
	s_nop 0
	v_pk_fma_f32 v[18:19], v[12:13], v[28:29], v[16:17] op_sel:[0,0,1] op_sel_hi:[1,1,0] neg_lo:[0,0,1] neg_hi:[0,0,1]
	v_pk_fma_f32 v[12:13], v[12:13], v[28:29], v[16:17] op_sel:[0,0,1] op_sel_hi:[1,0,0]
	s_nop 0
	v_mov_b32_e32 v19, v13
	v_pk_add_f32 v[12:13], v[48:49], v[18:19] neg_lo:[0,1] neg_hi:[0,1]
	s_nop 0
	v_pk_fma_f32 v[16:17], v[48:49], 2.0, v[12:13] op_sel_hi:[1,0,1] neg_lo:[0,0,1] neg_hi:[0,0,1]
	ds_write2_b64 v21, v[16:17], v[12:13] offset1:28
	s_waitcnt vmcnt(1)
	v_pk_mul_f32 v[12:13], v[14:15], v[26:27] op_sel:[0,1]
	s_nop 0
	v_pk_fma_f32 v[16:17], v[14:15], v[26:27], v[12:13] op_sel:[0,0,1] op_sel_hi:[1,1,0] neg_lo:[0,0,1] neg_hi:[0,0,1]
	v_pk_fma_f32 v[12:13], v[14:15], v[26:27], v[12:13] op_sel:[0,0,1] op_sel_hi:[1,0,0]
	s_nop 0
	v_mov_b32_e32 v17, v13
	v_pk_add_f32 v[12:13], v[46:47], v[16:17] neg_lo:[0,1] neg_hi:[0,1]
	v_perm_b32 v16, v157, v155, s3
	v_pk_mul_lo_u16 v16, v16, s2 op_sel_hi:[1,0]
	v_pk_fma_f32 v[14:15], v[46:47], 2.0, v[12:13] op_sel_hi:[1,0,1] neg_lo:[0,0,1] neg_hi:[0,0,1]
	v_and_b32_e32 v17, 0xffc0, v16
	v_add3_u32 v17, 0, v17, v156
	ds_write2_b64 v17, v[14:15], v[12:13] offset1:28
	v_lshrrev_b32_e32 v12, 16, v16
	v_add3_u32 v16, 0, v12, v158
	s_waitcnt vmcnt(0)
	v_pk_mul_f32 v[12:13], v[8:9], v[2:3] op_sel:[0,1]
	s_nop 0
	v_pk_fma_f32 v[14:15], v[8:9], v[2:3], v[12:13] op_sel:[0,0,1] op_sel_hi:[1,1,0] neg_lo:[0,0,1] neg_hi:[0,0,1]
	v_pk_fma_f32 v[2:3], v[8:9], v[2:3], v[12:13] op_sel:[0,0,1] op_sel_hi:[1,0,0]
	s_nop 0
	v_mov_b32_e32 v15, v3
	v_pk_add_f32 v[2:3], v[44:45], v[14:15] neg_lo:[0,1] neg_hi:[0,1]
	s_nop 0
	v_pk_fma_f32 v[8:9], v[44:45], 2.0, v[2:3] op_sel_hi:[1,0,1] neg_lo:[0,0,1] neg_hi:[0,0,1]
	ds_write2_b64 v16, v[8:9], v[2:3] offset1:28
	v_pk_mul_f32 v[2:3], v[10:11], v[114:115] op_sel:[0,1]
	s_nop 0
	v_pk_fma_f32 v[8:9], v[10:11], v[114:115], v[2:3] op_sel:[0,0,1] op_sel_hi:[1,1,0] neg_lo:[0,0,1] neg_hi:[0,0,1]
	v_pk_fma_f32 v[2:3], v[10:11], v[114:115], v[2:3] op_sel:[0,0,1] op_sel_hi:[1,0,0]
	v_perm_b32 v10, v149, v148, s3
	v_mov_b32_e32 v9, v3
	v_pk_mul_lo_u16 v10, v10, s2 op_sel_hi:[1,0]
	v_pk_add_f32 v[2:3], v[42:43], v[8:9] neg_lo:[0,1] neg_hi:[0,1]
	v_and_b32_e32 v11, 0xffc0, v10
	v_pk_fma_f32 v[8:9], v[42:43], 2.0, v[2:3] op_sel_hi:[1,0,1] neg_lo:[0,0,1] neg_hi:[0,0,1]
	v_add3_u32 v11, 0, v11, v151
	ds_write2_b64 v11, v[8:9], v[2:3] offset1:28
	v_lshrrev_b32_e32 v2, 16, v10
	v_add3_u32 v10, 0, v2, v152
	v_pk_mul_f32 v[2:3], v[4:5], v[112:113] op_sel:[0,1]
	s_nop 0
	v_pk_fma_f32 v[8:9], v[4:5], v[112:113], v[2:3] op_sel:[0,0,1] op_sel_hi:[1,1,0] neg_lo:[0,0,1] neg_hi:[0,0,1]
	v_pk_fma_f32 v[2:3], v[4:5], v[112:113], v[2:3] op_sel:[0,0,1] op_sel_hi:[1,0,0]
	s_nop 0
	v_mov_b32_e32 v9, v3
	v_pk_add_f32 v[2:3], v[40:41], v[8:9] neg_lo:[0,1] neg_hi:[0,1]
	s_nop 0
	v_pk_fma_f32 v[4:5], v[40:41], 2.0, v[2:3] op_sel_hi:[1,0,1] neg_lo:[0,0,1] neg_hi:[0,0,1]
	ds_write2_b64 v10, v[4:5], v[2:3] offset1:28
	v_mul_u32_u24_e32 v2, 0x1c0, v150
	v_add3_u32 v8, 0, v2, v153
	v_pk_mul_f32 v[2:3], v[6:7], v[110:111] op_sel:[0,1]
	s_nop 0
	v_pk_fma_f32 v[4:5], v[6:7], v[110:111], v[2:3] op_sel:[0,0,1] op_sel_hi:[1,1,0] neg_lo:[0,0,1] neg_hi:[0,0,1]
	v_pk_fma_f32 v[2:3], v[6:7], v[110:111], v[2:3] op_sel:[0,0,1] op_sel_hi:[1,0,0]
	s_nop 0
	v_mov_b32_e32 v5, v3
	v_pk_add_f32 v[2:3], v[0:1], v[4:5] neg_lo:[0,1] neg_hi:[0,1]
	s_nop 0
	v_pk_fma_f32 v[0:1], v[0:1], 2.0, v[2:3] op_sel_hi:[1,0,1] neg_lo:[0,0,1] neg_hi:[0,0,1]
	ds_write2_b64 v8, v[0:1], v[2:3] offset1:28
	s_and_saveexec_b64 s[2:3], vcc
	s_cbranch_execz .LBB0_19
; %bb.18:
	v_add_u16_e32 v0, 0x3b8, v60
	v_lshrrev_b16_e32 v1, 2, v0
	v_mul_u32_u24_e32 v1, 0x4925, v1
	v_lshrrev_b32_e32 v1, 17, v1
	v_mul_lo_u16_e32 v1, 28, v1
	v_sub_u16_e32 v0, v0, v1
	v_lshlrev_b32_e32 v3, 3, v0
	global_load_dwordx2 v[0:1], v3, s[4:5] offset:192
	v_mov_b32_e32 v2, v53
	v_add_u32_e32 v6, 0, v3
	v_mov_b32_e32 v37, v39
	s_waitcnt vmcnt(0)
	v_pk_mul_f32 v[2:3], v[2:3], v[0:1] op_sel_hi:[0,1]
	v_pk_fma_f32 v[4:5], v[52:53], v[0:1], v[2:3] op_sel:[0,0,1] op_sel_hi:[1,1,0] neg_lo:[0,0,1] neg_hi:[0,0,1]
	v_pk_fma_f32 v[0:1], v[52:53], v[0:1], v[2:3] op_sel:[0,0,1] op_sel_hi:[0,1,0]
	v_mov_b32_e32 v5, v1
	v_pk_add_f32 v[0:1], v[36:37], v[4:5] neg_lo:[0,1] neg_hi:[0,1]
	v_add_u32_e32 v4, 0x3800, v6
	v_pk_fma_f32 v[2:3], v[36:37], 2.0, v[0:1] op_sel_hi:[1,0,1] neg_lo:[0,0,1] neg_hi:[0,0,1]
	ds_write2_b64 v4, v[2:3], v[0:1] offset0:112 offset1:140
.LBB0_19:
	s_or_b64 exec, exec, s[2:3]
	v_mul_u32_u24_e32 v0, 6, v60
	v_lshrrev_b16_e32 v1, 3, v76
	v_lshlrev_b32_e32 v0, 3, v0
	v_and_b32_e32 v1, 31, v1
	s_waitcnt lgkmcnt(0)
	; wave barrier
	s_waitcnt lgkmcnt(0)
	global_load_dwordx4 v[8:11], v0, s[4:5] offset:416
	global_load_dwordx4 v[16:19], v0, s[4:5] offset:432
	;; [unrolled: 1-line block ×3, first 2 shown]
	v_lshrrev_b16_e32 v0, 3, v80
	v_mov_b32_e32 v24, 56
	v_mul_lo_u16_e32 v1, 37, v1
	v_and_b32_e32 v0, 31, v0
	v_mul_lo_u16_sdwa v1, v1, v24 dst_sel:DWORD dst_unused:UNUSED_PAD src0_sel:BYTE_1 src1_sel:DWORD
	v_mul_lo_u16_e32 v0, 37, v0
	v_sub_u16_e32 v1, v76, v1
	v_mul_lo_u16_sdwa v0, v0, v24 dst_sel:DWORD dst_unused:UNUSED_PAD src0_sel:BYTE_1 src1_sel:DWORD
	v_and_b32_e32 v97, 0xff, v1
	v_mul_u32_u24_e32 v1, 6, v97
	v_sub_u16_e32 v0, v80, v0
	v_lshlrev_b32_e32 v94, 3, v1
	v_and_b32_e32 v99, 0xff, v0
	global_load_dwordx4 v[4:7], v94, s[4:5] offset:448
	v_mul_u32_u24_e32 v0, 6, v99
	v_lshlrev_b32_e32 v52, 3, v0
	global_load_dwordx4 v[0:3], v52, s[4:5] offset:448
	v_add_u32_e32 v91, v61, v20
	v_lshrrev_b16_e32 v20, 3, v69
	v_mul_u32_u24_e32 v25, 0x2493, v20
	v_mul_lo_u16_sdwa v24, v25, v24 dst_sel:DWORD dst_unused:UNUSED_PAD src0_sel:WORD_1 src1_sel:DWORD
	v_sub_u16_e32 v101, v69, v24
	v_mul_u32_u24_e32 v24, 6, v101
	v_add_u32_e32 v61, 0x1800, v160
	v_lshlrev_b32_e32 v24, 3, v24
	v_add_u32_e32 v77, 0x2000, v160
	v_add_u32_e32 v67, 0x2800, v160
	;; [unrolled: 1-line block ×4, first 2 shown]
	ds_read_b64 v[142:143], v162
	ds_read_b64 v[144:145], v161
	;; [unrolled: 1-line block ×4, first 2 shown]
	ds_read2_b64 v[132:135], v77 offset0:96 offset1:152
	ds_read2_b64 v[20:23], v61 offset0:128 offset1:184
	;; [unrolled: 1-line block ×6, first 2 shown]
	global_load_dwordx4 v[48:51], v24, s[4:5] offset:416
	v_add_u32_e32 v65, 0x3000, v160
	v_add_u32_e32 v79, 0x3800, v160
	ds_read2_b64 v[136:139], v65 offset0:144 offset1:200
	ds_read2_b64 v[146:149], v79 offset1:56
	global_load_dwordx4 v[44:47], v24, s[4:5] offset:432
	global_load_dwordx4 v[56:59], v24, s[4:5] offset:448
                                        ; kill: killed $vgpr24
	s_nop 0
	global_load_dwordx4 v[24:27], v52, s[4:5] offset:416
	s_nop 0
	global_load_dwordx4 v[52:55], v52, s[4:5] offset:432
	s_waitcnt lgkmcnt(11)
	v_mov_b32_e32 v150, v143
	s_waitcnt lgkmcnt(7)
	v_mov_b32_e32 v151, v132
	;; [unrolled: 2-line block ×3, first 2 shown]
	v_add_u32_e32 v73, 0x1400, v160
	v_mov_b32_e32 v157, v144
	ds_read2_b64 v[172:175], v65 offset0:32 offset1:88
	s_mov_b32 s14, 0x3f4a47b2
	s_mov_b32 s10, 0x3eae86e6
	;; [unrolled: 1-line block ×10, first 2 shown]
	v_mov_b32_e32 v107, v95
	v_mov_b32_e32 v105, v95
	s_waitcnt vmcnt(9)
	v_mul_f32_e32 v69, v11, v143
	s_waitcnt vmcnt(8)
	v_mul_f32_e32 v119, v132, v19
	s_waitcnt vmcnt(7)
	v_pk_mul_f32 v[112:113], v[38:39], v[12:13]
	v_mov_b32_e32 v122, v15
	v_mov_b32_e32 v112, v11
	v_pk_mul_f32 v[120:121], v[20:21], v[16:17] op_sel:[0,1]
	v_mov_b32_e32 v118, v15
	s_waitcnt lgkmcnt(2)
	v_pk_mul_f32 v[124:125], v[136:137], v[14:15] op_sel_hi:[1,0]
	v_mov_b32_e32 v130, v113
	v_pk_mul_f32 v[154:155], v[32:33], v[112:113] op_sel_hi:[1,0]
	v_pk_mul_f32 v[112:113], v[138:139], v[122:123] op_sel_hi:[1,0]
	v_mul_f32_e32 v117, v133, v18
	v_mov_b32_e32 v116, v19
	v_mov_b32_e32 v143, v133
	v_pk_fma_f32 v[128:129], v[20:21], v[16:17], v[120:121] op_sel:[0,0,1] op_sel_hi:[1,1,0] neg_lo:[0,0,1] neg_hi:[0,0,1]
	v_pk_fma_f32 v[132:133], v[20:21], v[16:17], v[120:121] op_sel:[0,0,1] op_sel_hi:[1,0,0]
	v_pk_fma_f32 v[126:127], v[136:137], v[118:119], v[124:125] op_sel:[0,0,1] op_sel_hi:[1,1,0]
	v_pk_fma_f32 v[124:125], v[136:137], v[122:123], v[124:125] op_sel:[0,0,1] op_sel_hi:[1,0,0] neg_lo:[1,0,0] neg_hi:[1,0,0]
	v_pk_fma_f32 v[120:121], v[138:139], v[14:15], v[112:113] op_sel:[0,0,1] op_sel_hi:[1,1,0] neg_lo:[0,0,1] neg_hi:[0,0,1]
	v_pk_fma_f32 v[136:137], v[138:139], v[14:15], v[112:113] op_sel:[0,0,1] op_sel_hi:[1,0,0]
	ds_read_b64 v[138:139], v91
	v_pk_mul_f32 v[20:21], v[134:135], v[116:117] op_sel_hi:[1,0]
	s_waitcnt vmcnt(6) lgkmcnt(2)
	v_pk_mul_f32 v[14:15], v[148:149], v[6:7] op_sel_hi:[1,0]
	v_mov_b32_e32 v6, v7
	v_mov_b32_e32 v112, v7
	v_pk_fma_f32 v[122:123], v[38:39], v[12:13], v[130:131] neg_lo:[0,0,1] neg_hi:[0,0,1]
	v_pk_fma_f32 v[130:131], v[134:135], v[18:19], v[20:21] op_sel:[0,0,1] op_sel_hi:[1,1,0] neg_lo:[0,0,1] neg_hi:[0,0,1]
	v_pk_fma_f32 v[134:135], v[134:135], v[18:19], v[20:21] op_sel:[0,0,1] op_sel_hi:[1,0,0]
	v_pk_fma_f32 v[20:21], v[148:149], v[6:7], v[14:15] op_sel:[0,0,1] op_sel_hi:[1,1,0]
	v_pk_fma_f32 v[14:15], v[148:149], v[112:113], v[14:15] op_sel:[0,0,1] op_sel_hi:[1,0,0] neg_lo:[1,0,0] neg_hi:[1,0,0]
	s_waitcnt vmcnt(5)
	v_pk_mul_f32 v[112:113], v[146:147], v[2:3] op_sel_hi:[1,0]
	v_mov_b32_e32 v2, v3
	v_mov_b32_e32 v14, v3
	v_pk_fma_f32 v[6:7], v[146:147], v[2:3], v[112:113] op_sel:[0,0,1] op_sel_hi:[1,1,0]
	v_pk_fma_f32 v[2:3], v[146:147], v[14:15], v[112:113] op_sel:[0,0,1] op_sel_hi:[1,0,0] neg_lo:[1,0,0] neg_hi:[1,0,0]
	ds_read_b64 v[112:113], v163
	s_waitcnt lgkmcnt(1)
	v_mov_b32_e32 v2, v139
	v_pk_mul_f32 v[146:147], v[8:9], v[138:139] op_sel_hi:[1,0]
	v_mul_f32_e32 v115, v145, v16
	v_pk_fma_f32 v[140:141], v[8:9], v[2:3], v[146:147] op_sel:[0,0,1] op_sel_hi:[1,1,0]
	v_pk_fma_f32 v[138:139], v[8:9], v[138:139], v[146:147] op_sel:[0,1,1] op_sel_hi:[1,1,0] neg_lo:[1,0,0] neg_hi:[1,0,0]
	v_mov_b32_e32 v147, v18
	v_mov_b32_e32 v18, v11
	;; [unrolled: 1-line block ×5, first 2 shown]
	v_mul_f32_e32 v103, v144, v17
	v_pk_mul_f32 v[152:153], v[28:29], v[12:13] op_sel:[0,1]
	v_fma_f32 v114, v10, v142, -v69
	v_mov_b32_e32 v146, v10
	v_pk_mul_f32 v[142:143], v[18:19], v[142:143]
	v_pk_mul_f32 v[16:17], v[38:39], v[16:17]
	v_mov_b32_e32 v158, v12
	v_pk_fma_f32 v[18:19], v[146:147], v[150:151], v[142:143] neg_lo:[0,0,1] neg_hi:[0,0,1]
	v_pk_fma_f32 v[142:143], v[10:11], v[150:151], v[142:143]
	v_pk_fma_f32 v[146:147], v[28:29], v[12:13], v[152:153] op_sel:[0,0,1] op_sel_hi:[1,1,0] neg_lo:[0,0,1] neg_hi:[0,0,1]
	v_pk_fma_f32 v[148:149], v[28:29], v[12:13], v[152:153] op_sel:[0,0,1] op_sel_hi:[1,0,0]
	v_pk_fma_f32 v[144:145], v[156:157], v[12:13], v[16:17]
	v_pk_fma_f32 v[150:151], v[32:33], v[10:11], v[154:155] op_sel:[0,0,1] op_sel_hi:[1,1,0] neg_lo:[0,0,1] neg_hi:[0,0,1]
	v_pk_fma_f32 v[152:153], v[32:33], v[10:11], v[154:155] op_sel:[0,0,1] op_sel_hi:[1,0,0]
	v_pk_fma_f32 v[28:29], v[156:157], v[158:159], v[16:17] neg_lo:[0,0,1] neg_hi:[0,0,1]
	ds_read2_b64 v[154:157], v73 offset0:88 offset1:144
	v_add_u32_e32 v69, 0x1c00, v160
	ds_read2_b64 v[168:171], v69 offset0:112 offset1:168
	v_pk_mul_f32 v[10:11], v[40:41], v[8:9] op_sel:[0,1]
	v_mov_b32_e32 v16, v175
	v_pk_fma_f32 v[32:33], v[40:41], v[8:9], v[10:11] op_sel:[0,0,1] op_sel_hi:[1,1,0] neg_lo:[0,0,1] neg_hi:[0,0,1]
	v_pk_fma_f32 v[38:39], v[40:41], v[8:9], v[10:11] op_sel:[0,0,1] op_sel_hi:[1,0,0]
	s_waitcnt vmcnt(4) lgkmcnt(1)
	v_pk_mul_f32 v[8:9], v[156:157], v[50:51]
	s_waitcnt lgkmcnt(0)
	v_mov_b32_e32 v17, v170
	v_mov_b32_e32 v2, v9
	s_waitcnt vmcnt(2)
	v_pk_mul_f32 v[8:9], v[174:175], v[56:57]
	v_pk_fma_f32 v[10:11], v[156:157], v[50:51], v[2:3] neg_lo:[0,0,1] neg_hi:[0,0,1]
	v_mov_b32_e32 v2, v9
	v_mul_f32_e32 v11, v171, v44
	v_pk_fma_f32 v[12:13], v[174:175], v[56:57], v[2:3] neg_lo:[0,0,1] neg_hi:[0,0,1]
	v_mov_b32_e32 v9, v44
	v_mov_b32_e32 v175, v171
	;; [unrolled: 1-line block ×4, first 2 shown]
	v_pk_mul_f32 v[40:41], v[174:175], v[44:45]
	v_mov_b32_e32 v2, v59
	v_pk_fma_f32 v[8:9], v[16:17], v[8:9], v[40:41] neg_lo:[0,0,1] neg_hi:[0,0,1]
	v_pk_fma_f32 v[16:17], v[16:17], v[56:57], v[40:41]
	ds_read_b64 v[40:41], v160 offset:15232
	ds_read_b64 v[182:183], v160
	v_mov_b32_e32 v8, v59
	v_mul_f32_e32 v171, v37, v46
	v_add_u32_e32 v124, 0x2400, v160
	s_waitcnt lgkmcnt(1)
	v_pk_mul_f32 v[56:57], v[40:41], v[58:59] op_sel_hi:[1,0]
	v_mov_b32_e32 v59, v46
	v_pk_fma_f32 v[184:185], v[40:41], v[2:3], v[56:57] op_sel:[0,0,1] op_sel_hi:[1,1,0]
	v_pk_fma_f32 v[40:41], v[40:41], v[8:9], v[56:57] op_sel:[0,0,1] op_sel_hi:[1,0,0] neg_lo:[1,0,0] neg_hi:[1,0,0]
	v_mov_b32_e32 v56, v157
	v_mov_b32_e32 v157, v37
	;; [unrolled: 1-line block ×5, first 2 shown]
	v_pk_mul_f32 v[156:157], v[156:157], v[46:47]
	v_mov_b32_e32 v2, v49
	v_pk_fma_f32 v[186:187], v[56:57], v[58:59], v[156:157] neg_lo:[0,0,1] neg_hi:[0,0,1]
	v_pk_fma_f32 v[188:189], v[56:57], v[50:51], v[156:157]
	ds_read2_b64 v[56:59], v81 offset0:192 offset1:248
	v_mov_b32_e32 v116, v139
	v_mov_b32_e32 v118, v125
	v_mov_b32_e32 v123, v103
	v_mov_b32_e32 v44, v35
	s_waitcnt lgkmcnt(0)
	v_pk_mul_f32 v[50:51], v[58:59], v[48:49] op_sel_hi:[1,0]
	v_pk_add_f32 v[116:117], v[116:117], v[118:119]
	v_pk_fma_f32 v[190:191], v[58:59], v[48:49], v[50:51] op_sel:[0,1,1] op_sel_hi:[1,1,0] neg_lo:[1,0,0] neg_hi:[1,0,0]
	v_pk_fma_f32 v[192:193], v[58:59], v[2:3], v[50:51] op_sel:[0,0,1] op_sel_hi:[1,1,0]
	global_load_dwordx4 v[48:51], v94, s[4:5] offset:416
	global_load_dwordx4 v[174:177], v94, s[4:5] offset:432
	ds_read2_b64 v[178:181], v124 offset0:80 offset1:136
	v_pk_add_f32 v[118:119], v[114:115], v[122:123]
	v_mov_b32_e32 v151, v153
	v_mov_b32_e32 v147, v149
	;; [unrolled: 1-line block ×8, first 2 shown]
	v_mul_f32_e32 v13, v170, v45
	s_waitcnt lgkmcnt(0)
	v_mov_b32_e32 v45, v178
	v_mov_b32_e32 v141, v139
	;; [unrolled: 1-line block ×5, first 2 shown]
	v_pk_add_f32 v[132:133], v[142:143], v[144:145]
	v_pk_add_f32 v[134:135], v[142:143], v[144:145] neg_lo:[0,1] neg_hi:[0,1]
	v_mov_b32_e32 v28, v29
	v_mov_b32_e32 v29, v132
	;; [unrolled: 1-line block ×11, first 2 shown]
	v_lshlrev_b32_e32 v94, 2, v60
	v_mov_b32_e32 v103, v95
	s_waitcnt vmcnt(1)
	v_pk_mul_f32 v[58:59], v[56:57], v[48:49] op_sel_hi:[1,0]
	v_mov_b32_e32 v2, v49
	v_pk_fma_f32 v[158:159], v[56:57], v[48:49], v[58:59] op_sel:[0,1,1] op_sel_hi:[1,1,0] neg_lo:[1,0,0] neg_hi:[1,0,0]
	v_pk_mul_f32 v[48:49], v[154:155], v[50:51]
	v_pk_fma_f32 v[194:195], v[56:57], v[2:3], v[58:59] op_sel:[0,0,1] op_sel_hi:[1,1,0]
	v_mov_b32_e32 v2, v49
	v_pk_fma_f32 v[156:157], v[154:155], v[50:51], v[2:3] neg_lo:[0,0,1] neg_hi:[0,0,1]
	v_mov_b32_e32 v48, v155
	v_mov_b32_e32 v155, v181
	s_waitcnt vmcnt(0)
	v_mul_f32_e32 v181, v181, v176
	v_mov_b32_e32 v57, v176
	v_mov_b32_e32 v176, v51
	v_pk_mul_f32 v[58:59], v[154:155], v[176:177]
	v_mov_b32_e32 v49, v180
	v_mov_b32_e32 v56, v50
	v_pk_fma_f32 v[196:197], v[48:49], v[50:51], v[58:59]
	v_pk_fma_f32 v[154:155], v[48:49], v[56:57], v[58:59] neg_lo:[0,0,1] neg_hi:[0,0,1]
	v_pk_mul_f32 v[48:49], v[172:173], v[4:5]
	v_mul_f32_e32 v157, v169, v174
	v_mov_b32_e32 v2, v49
	v_pk_fma_f32 v[198:199], v[172:173], v[4:5], v[2:3] neg_lo:[0,0,1] neg_hi:[0,0,1]
	v_mov_b32_e32 v48, v173
	v_mov_b32_e32 v173, v169
	;; [unrolled: 1-line block ×4, first 2 shown]
	v_pk_mul_f32 v[56:57], v[172:173], v[174:175]
	v_mov_b32_e32 v49, v168
	v_mov_b32_e32 v50, v4
	v_pk_fma_f32 v[172:173], v[48:49], v[4:5], v[56:57]
	v_pk_mul_f32 v[4:5], v[42:43], v[24:25] op_sel_hi:[1,0]
	v_mov_b32_e32 v2, v25
	v_pk_fma_f32 v[200:201], v[48:49], v[50:51], v[56:57] neg_lo:[0,0,1] neg_hi:[0,0,1]
	v_pk_fma_f32 v[58:59], v[42:43], v[2:3], v[4:5] op_sel:[0,0,1] op_sel_hi:[1,1,0]
	v_pk_fma_f32 v[56:57], v[42:43], v[24:25], v[4:5] op_sel:[0,1,1] op_sel_hi:[1,1,0] neg_lo:[1,0,0] neg_hi:[1,0,0]
	v_pk_mul_f32 v[4:5], v[34:35], v[26:27]
	v_mul_f32_e32 v43, v36, v47
	v_mov_b32_e32 v2, v5
	v_mul_f32_e32 v199, v168, v175
	v_pk_fma_f32 v[46:47], v[34:35], v[26:27], v[2:3] neg_lo:[0,0,1] neg_hi:[0,0,1]
	v_mov_b32_e32 v35, v179
	v_mul_f32_e32 v49, v179, v54
	v_mov_b32_e32 v175, v54
	v_mov_b32_e32 v54, v27
	v_pk_mul_f32 v[4:5], v[30:31], v[0:1]
	v_mul_f32_e32 v169, v180, v177
	v_pk_mul_f32 v[176:177], v[34:35], v[54:55]
	v_mov_b32_e32 v2, v5
	v_mov_b32_e32 v35, v114
	;; [unrolled: 1-line block ×4, first 2 shown]
	v_mul_f32_e32 v51, v178, v55
	v_mul_f32_e32 v47, v23, v52
	v_pk_fma_f32 v[54:55], v[30:31], v[0:1], v[2:3] neg_lo:[0,0,1] neg_hi:[0,0,1]
	v_mov_b32_e32 v31, v23
	v_mov_b32_e32 v23, v52
	;; [unrolled: 1-line block ×3, first 2 shown]
	v_pk_add_f32 v[4:5], v[150:151], v[146:147]
	v_pk_add_f32 v[114:115], v[34:35], v[36:37] neg_lo:[0,1] neg_hi:[0,1]
	v_pk_add_f32 v[34:35], v[32:33], v[120:121]
	v_pk_mul_f32 v[178:179], v[30:31], v[52:53]
	v_pk_add_f32 v[30:31], v[128:129], v[130:131]
	v_pk_add_f32 v[36:37], v[4:5], v[34:35]
	v_pk_add_f32 v[24:25], v[150:151], v[146:147] neg_lo:[0,1] neg_hi:[0,1]
	v_pk_add_f32 v[128:129], v[130:131], v[128:129] neg_lo:[0,1] neg_hi:[0,1]
	v_mov_b32_e32 v38, v36
	v_mov_b32_e32 v39, v31
	;; [unrolled: 1-line block ×3, first 2 shown]
	v_pk_add_f32 v[32:33], v[32:33], v[120:121] neg_lo:[0,1] neg_hi:[0,1]
	v_pk_add_f32 v[36:37], v[38:39], v[36:37]
	v_pk_add_f32 v[120:121], v[4:5], v[34:35] neg_lo:[0,1] neg_hi:[0,1]
	v_pk_add_f32 v[34:35], v[34:35], v[30:31] neg_lo:[0,1] neg_hi:[0,1]
	v_pk_add_f32 v[38:39], v[128:129], v[24:25] op_sel:[1,1] op_sel_hi:[0,0]
	v_pk_add_f32 v[122:123], v[38:39], v[32:33] op_sel:[0,1] op_sel_hi:[1,0]
	v_pk_add_f32 v[136:137], v[32:33], v[128:129] op_sel:[1,1] op_sel_hi:[0,0] neg_lo:[0,1] neg_hi:[0,1]
	v_pk_add_f32 v[32:33], v[24:25], v[32:33] op_sel:[1,1] op_sel_hi:[0,0] neg_lo:[0,1] neg_hi:[0,1]
	v_pk_add_f32 v[38:39], v[110:111], v[36:37]
	v_pk_mul_f32 v[138:139], v[34:35], s[14:15] op_sel_hi:[1,0]
	v_pk_add_f32 v[130:131], v[140:141], v[126:127]
	v_pk_add_f32 v[126:127], v[140:141], v[126:127] neg_lo:[0,1] neg_hi:[0,1]
	v_pk_mul_f32 v[32:33], v[32:33], s[6:7] op_sel_hi:[1,0]
	v_pk_fma_f32 v[140:141], v[36:37], s[12:13], v[38:39] op_sel_hi:[1,0,1] neg_lo:[1,0,0] neg_hi:[1,0,0]
	v_pk_fma_f32 v[34:35], v[120:121], s[8:9], v[138:139] op_sel_hi:[1,0,1] neg_lo:[1,0,1] neg_hi:[1,0,1]
	v_mul_f32_e32 v55, v22, v53
	v_pk_add_f32 v[36:37], v[34:35], v[140:141]
	v_pk_fma_f32 v[34:35], v[136:137], s[10:11], v[32:33] op_sel_hi:[1,0,1] neg_lo:[1,0,1] neg_hi:[1,0,1]
	v_mov_b32_e32 v19, v130
	v_pk_fma_f32 v[52:53], v[122:123], s[2:3], v[34:35] op_sel_hi:[1,0,1]
	v_pk_add_f32 v[18:19], v[28:29], v[18:19]
	v_pk_add_f32 v[34:35], v[36:37], v[52:53]
	v_pk_add_f32 v[36:37], v[36:37], v[52:53] neg_lo:[0,1] neg_hi:[0,1]
	v_mov_b32_e32 v52, v114
	v_mov_b32_e32 v53, v127
	v_pk_add_f32 v[52:53], v[52:53], v[134:135] neg_lo:[0,1] neg_hi:[0,1]
	v_pk_add_f32 v[110:111], v[118:119], v[116:117]
	v_pk_mul_f32 v[142:143], v[52:53], s[18:19]
	v_pk_add_f32 v[52:53], v[134:135], v[114:115]
	v_mov_b32_e32 v119, v111
	v_pk_add_f32 v[144:145], v[52:53], v[126:127]
	v_mov_b32_e32 v52, v18
	v_mov_b32_e32 v53, v130
	v_pk_add_f32 v[52:53], v[52:53], v[118:119] neg_lo:[0,1] neg_hi:[0,1]
	v_mov_b32_e32 v117, v111
	v_pk_add_f32 v[110:111], v[110:111], v[18:19]
	v_mov_b32_e32 v19, v132
	v_mov_b32_e32 v28, v126
	;; [unrolled: 1-line block ×3, first 2 shown]
	v_pk_add_f32 v[18:19], v[116:117], v[18:19] neg_lo:[0,1] neg_hi:[0,1]
	v_pk_add_f32 v[146:147], v[182:183], v[110:111]
	v_pk_mul_f32 v[148:149], v[52:53], s[16:17]
	s_mov_b32 s15, s16
	v_pk_add_f32 v[28:29], v[28:29], v[114:115] neg_lo:[0,1] neg_hi:[0,1]
	v_pk_fma_f32 v[150:151], v[110:111], s[12:13], v[146:147] op_sel_hi:[1,0,1] neg_lo:[1,0,0] neg_hi:[1,0,0]
	v_pk_fma_f32 v[52:53], v[18:19], s[14:15], v[148:149]
	v_mov_b32_e32 v135, v115
	v_pk_add_f32 v[110:111], v[52:53], v[150:151]
	v_pk_fma_f32 v[52:53], v[28:29], s[10:11], v[142:143]
	v_mov_b32_e32 v119, v132
	v_mov_b32_e32 v117, v130
	v_pk_mul_f32 v[28:29], v[28:29], s[10:11]
	v_pk_mul_f32 v[18:19], v[18:19], s[14:15]
	v_pk_add_f32 v[114:115], v[134:135], v[126:127] neg_lo:[0,1] neg_hi:[0,1]
	v_pk_add_f32 v[116:117], v[118:119], v[116:117] neg_lo:[0,1] neg_hi:[0,1]
	v_mov_b32_e32 v119, v149
	v_mov_b32_e32 v127, v143
	;; [unrolled: 1-line block ×6, first 2 shown]
	v_pk_fma_f32 v[18:19], v[116:117], s[8:9], v[148:149] op_sel_hi:[1,0,1] neg_lo:[0,0,1] neg_hi:[0,0,1]
	v_pk_fma_f32 v[28:29], v[114:115], s[6:7], v[142:143] op_sel_hi:[1,0,1] neg_lo:[0,0,1] neg_hi:[0,0,1]
	v_pk_add_f32 v[18:19], v[18:19], v[150:151]
	v_pk_fma_f32 v[28:29], v[144:145], s[2:3], v[28:29] op_sel_hi:[1,0,1]
	v_pk_fma_f32 v[118:119], v[116:117], s[8:9], v[118:119] op_sel_hi:[1,0,1] neg_lo:[1,0,1] neg_hi:[1,0,1]
	v_pk_fma_f32 v[126:127], v[114:115], s[6:7], v[126:127] op_sel_hi:[1,0,1] neg_lo:[1,0,1] neg_hi:[1,0,1]
	v_pk_add_f32 v[114:115], v[18:19], v[28:29] neg_lo:[0,1] neg_hi:[0,1]
	v_pk_add_f32 v[116:117], v[18:19], v[28:29]
	v_pk_add_f32 v[4:5], v[30:31], v[4:5] neg_lo:[0,1] neg_hi:[0,1]
	v_pk_add_f32 v[18:19], v[128:129], v[24:25] op_sel:[1,1] op_sel_hi:[0,0] neg_lo:[0,1] neg_hi:[0,1]
	v_pk_mul_f32 v[24:25], v[120:121], s[8:9] op_sel_hi:[1,0]
	v_pk_fma_f32 v[28:29], v[18:19], s[20:21], v[32:33] op_sel_hi:[1,0,1] neg_lo:[1,0,0] neg_hi:[1,0,0]
	v_pk_fma_f32 v[24:25], v[4:5], s[16:17], v[24:25] op_sel_hi:[1,0,1] neg_lo:[1,0,0] neg_hi:[1,0,0]
	v_pk_add_f32 v[118:119], v[118:119], v[150:151]
	v_pk_fma_f32 v[126:127], v[144:145], s[2:3], v[126:127] op_sel_hi:[1,0,1]
	v_pk_add_f32 v[24:25], v[24:25], v[140:141]
	v_pk_fma_f32 v[28:29], v[122:123], s[2:3], v[28:29] op_sel_hi:[1,0,1]
	v_pk_add_f32 v[130:131], v[118:119], v[126:127]
	v_pk_add_f32 v[118:119], v[118:119], v[126:127] neg_lo:[0,1] neg_hi:[0,1]
	v_pk_add_f32 v[120:121], v[24:25], v[28:29] neg_lo:[0,1] neg_hi:[0,1]
	v_pk_add_f32 v[126:127], v[24:25], v[28:29]
	v_pk_mul_f32 v[24:25], v[136:137], s[10:11] op_sel_hi:[1,0]
	v_pk_fma_f32 v[4:5], v[4:5], s[16:17], v[138:139] op_sel_hi:[1,0,1]
	v_pk_fma_f32 v[18:19], v[18:19], s[20:21], v[24:25] op_sel_hi:[1,0,1]
	v_pk_add_f32 v[4:5], v[4:5], v[140:141]
	v_pk_fma_f32 v[18:19], v[122:123], s[2:3], v[18:19] op_sel_hi:[1,0,1]
	v_pk_add_f32 v[24:25], v[188:189], v[16:17]
	v_pk_add_f32 v[122:123], v[4:5], v[18:19] neg_lo:[0,1] neg_hi:[0,1]
	v_pk_add_f32 v[128:129], v[4:5], v[18:19]
	v_pk_add_f32 v[4:5], v[192:193], v[184:185]
	v_mov_b32_e32 v42, v41
	v_pk_add_f32 v[30:31], v[188:189], v[16:17] neg_lo:[0,1] neg_hi:[0,1]
	v_pk_add_f32 v[16:17], v[170:171], v[42:43]
	v_pk_add_f32 v[28:29], v[10:11], v[12:13]
	v_mov_b32_e32 v174, v26
	v_pk_fma_f32 v[132:133], v[44:45], v[26:27], v[176:177]
	v_mov_b32_e32 v9, v24
	v_mov_b32_e32 v26, v187
	;; [unrolled: 1-line block ×3, first 2 shown]
	v_pk_add_f32 v[18:19], v[192:193], v[184:185] neg_lo:[0,1] neg_hi:[0,1]
	v_mov_b32_e32 v11, v10
	v_mov_b32_e32 v10, v17
	;; [unrolled: 1-line block ×4, first 2 shown]
	v_pk_add_f32 v[8:9], v[8:9], v[26:27]
	v_pk_add_f32 v[40:41], v[28:29], v[16:17]
	v_pk_add_f32 v[32:33], v[10:11], v[12:13] neg_lo:[0,1] neg_hi:[0,1]
	v_mov_b32_e32 v10, v18
	v_mov_b32_e32 v11, v31
	;; [unrolled: 1-line block ×4, first 2 shown]
	v_pk_add_f32 v[134:135], v[10:11], v[32:33] neg_lo:[0,1] neg_hi:[0,1]
	v_mov_b32_e32 v10, v32
	v_mov_b32_e32 v11, v19
	v_pk_add_f32 v[26:27], v[26:27], v[28:29] neg_lo:[0,1] neg_hi:[0,1]
	v_mov_b32_e32 v17, v41
	v_pk_add_f32 v[40:41], v[40:41], v[8:9]
	v_mov_b32_e32 v9, v24
	v_pk_fma_f32 v[136:137], v[44:45], v[174:175], v[176:177] neg_lo:[0,0,1] neg_hi:[0,0,1]
	v_pk_add_f32 v[10:11], v[10:11], v[30:31] neg_lo:[0,1] neg_hi:[0,1]
	v_pk_add_f32 v[138:139], v[16:17], v[8:9] neg_lo:[0,1] neg_hi:[0,1]
	v_pk_add_f32 v[44:45], v[112:113], v[40:41]
	v_pk_mul_f32 v[42:43], v[26:27], s[16:17]
	v_pk_mul_f32 v[12:13], v[10:11], s[18:19]
	v_pk_add_f32 v[10:11], v[30:31], v[32:33]
	v_pk_fma_f32 v[40:41], v[40:41], s[12:13], v[44:45] op_sel_hi:[1,0,1] neg_lo:[1,0,0] neg_hi:[1,0,0]
	v_pk_fma_f32 v[8:9], v[138:139], s[14:15], v[42:43]
	v_pk_add_f32 v[10:11], v[10:11], v[18:19]
	v_pk_add_f32 v[26:27], v[8:9], v[40:41]
	v_pk_fma_f32 v[8:9], v[134:135], s[10:11], v[12:13]
	v_mov_b32_e32 v195, v159
	v_pk_fma_f32 v[112:113], v[10:11], s[2:3], v[8:9] op_sel_hi:[1,0,1]
	v_mov_b32_e32 v197, v155
	v_mov_b32_e32 v173, v201
	v_mov_b32_e32 v180, v159
	v_mov_b32_e32 v168, v15
	v_pk_fma_f32 v[152:153], v[144:145], s[2:3], v[52:53] op_sel_hi:[1,0,1]
	ds_read_b64 v[140:141], v164
	v_pk_add_f32 v[8:9], v[26:27], v[112:113]
	v_pk_add_f32 v[26:27], v[26:27], v[112:113] neg_lo:[0,1] neg_hi:[0,1]
	v_pk_add_f32 v[112:113], v[194:195], v[20:21]
	v_pk_add_f32 v[142:143], v[196:197], v[172:173]
	;; [unrolled: 1-line block ×5, first 2 shown]
	v_pk_add_f32 v[110:111], v[110:111], v[152:153] neg_lo:[0,1] neg_hi:[0,1]
	v_mov_b32_e32 v153, v156
	v_mov_b32_e32 v152, v149
	;; [unrolled: 1-line block ×8, first 2 shown]
	v_pk_add_f32 v[20:21], v[194:195], v[20:21] neg_lo:[0,1] neg_hi:[0,1]
	v_pk_add_f32 v[152:153], v[152:153], v[156:157] neg_lo:[0,1] neg_hi:[0,1]
	v_mov_b32_e32 v15, v22
	v_pk_add_f32 v[154:155], v[168:169], v[154:155]
	v_mov_b32_e32 v22, v0
	v_pk_add_f32 v[170:171], v[150:151], v[148:149]
	v_pk_add_f32 v[144:145], v[196:197], v[172:173] neg_lo:[0,1] neg_hi:[0,1]
	v_mov_b32_e32 v158, v152
	v_mov_b32_e32 v159, v21
	v_pk_fma_f32 v[0:1], v[14:15], v[0:1], v[178:179]
	v_pk_fma_f32 v[14:15], v[14:15], v[22:23], v[178:179] neg_lo:[0,0,1] neg_hi:[0,0,1]
	v_mov_b32_e32 v22, v154
	v_mov_b32_e32 v23, v112
	;; [unrolled: 1-line block ×5, first 2 shown]
	v_pk_add_f32 v[158:159], v[158:159], v[144:145] neg_lo:[0,1] neg_hi:[0,1]
	v_pk_add_f32 v[22:23], v[22:23], v[150:151] neg_lo:[0,1] neg_hi:[0,1]
	v_mov_b32_e32 v149, v171
	v_mov_b32_e32 v172, v154
	;; [unrolled: 1-line block ×3, first 2 shown]
	v_pk_add_f32 v[154:155], v[170:171], v[154:155]
	v_pk_add_f32 v[156:157], v[156:157], v[152:153] neg_lo:[0,1] neg_hi:[0,1]
	v_pk_mul_f32 v[158:159], v[158:159], s[18:19]
	v_pk_add_f32 v[168:169], v[144:145], v[152:153]
	v_pk_add_f32 v[172:173], v[148:149], v[172:173] neg_lo:[0,1] neg_hi:[0,1]
	s_waitcnt lgkmcnt(0)
	v_pk_add_f32 v[140:141], v[140:141], v[154:155]
	v_pk_mul_f32 v[22:23], v[22:23], s[16:17]
	v_pk_add_f32 v[168:169], v[168:169], v[20:21]
	v_pk_fma_f32 v[154:155], v[154:155], s[12:13], v[140:141] op_sel_hi:[1,0,1] neg_lo:[1,0,0] neg_hi:[1,0,0]
	v_pk_fma_f32 v[170:171], v[172:173], s[14:15], v[22:23]
	v_pk_fma_f32 v[174:175], v[156:157], s[10:11], v[158:159]
	v_pk_add_f32 v[170:171], v[170:171], v[154:155]
	v_pk_fma_f32 v[174:175], v[168:169], s[2:3], v[174:175] op_sel_hi:[1,0,1]
	v_mov_b32_e32 v59, v57
	v_mov_b32_e32 v133, v137
	;; [unrolled: 1-line block ×5, first 2 shown]
	v_pk_add_f32 v[176:177], v[170:171], v[174:175]
	v_pk_add_f32 v[170:171], v[170:171], v[174:175] neg_lo:[0,1] neg_hi:[0,1]
	v_pk_add_f32 v[174:175], v[58:59], v[6:7]
	v_pk_add_f32 v[6:7], v[58:59], v[6:7] neg_lo:[0,1] neg_hi:[0,1]
	v_pk_add_f32 v[58:59], v[132:133], v[0:1]
	v_pk_add_f32 v[2:3], v[46:47], v[54:55]
	;; [unrolled: 1-line block ×3, first 2 shown]
	v_mov_b32_e32 v51, v46
	v_mov_b32_e32 v50, v49
	;; [unrolled: 1-line block ×10, first 2 shown]
	v_pk_add_f32 v[46:47], v[50:51], v[46:47] neg_lo:[0,1] neg_hi:[0,1]
	s_waitcnt lgkmcnt(0)
	; wave barrier
	ds_write2_b64 v160, v[146:147], v[54:55] offset1:56
	v_mov_b32_e32 v54, v130
	v_mov_b32_e32 v55, v119
	;; [unrolled: 1-line block ×4, first 2 shown]
	v_pk_add_f32 v[14:15], v[14:15], v[136:137]
	v_mov_b32_e32 v117, v115
	v_pk_add_f32 v[114:115], v[2:3], v[48:49]
	v_pk_add_f32 v[0:1], v[132:133], v[0:1] neg_lo:[0,1] neg_hi:[0,1]
	ds_write2_b64 v160, v[54:55], v[146:147] offset0:112 offset1:168
	v_mov_b32_e32 v146, v46
	v_mov_b32_e32 v147, v7
	v_mov_b32_e32 v119, v131
	v_mov_b32_e32 v130, v14
	v_mov_b32_e32 v131, v174
	v_mov_b32_e32 v3, v115
	v_mov_b32_e32 v50, v6
	v_mov_b32_e32 v51, v1
	v_pk_add_f32 v[146:147], v[146:147], v[0:1] neg_lo:[0,1] neg_hi:[0,1]
	v_pk_add_f32 v[130:131], v[130:131], v[2:3] neg_lo:[0,1] neg_hi:[0,1]
	v_mov_b32_e32 v49, v115
	v_pk_add_f32 v[114:115], v[114:115], v[14:15]
	v_mov_b32_e32 v15, v58
	v_pk_add_f32 v[50:51], v[50:51], v[46:47] neg_lo:[0,1] neg_hi:[0,1]
	v_pk_mul_f32 v[146:147], v[146:147], s[18:19]
	v_pk_add_f32 v[136:137], v[0:1], v[46:47]
	v_pk_add_f32 v[14:15], v[48:49], v[14:15] neg_lo:[0,1] neg_hi:[0,1]
	v_pk_add_f32 v[108:109], v[108:109], v[114:115]
	v_pk_mul_f32 v[130:131], v[130:131], s[16:17]
	v_add_u32_e32 v1, 0x400, v160
	v_pk_mul_f32 v[54:55], v[50:51], s[10:11]
	v_pk_add_f32 v[136:137], v[136:137], v[6:7]
	ds_write2_b64 v1, v[116:117], v[118:119] offset0:96 offset1:152
	v_pk_mul_f32 v[116:117], v[14:15], s[14:15]
	v_pk_fma_f32 v[114:115], v[114:115], s[12:13], v[108:109] op_sel_hi:[1,0,1] neg_lo:[1,0,0] neg_hi:[1,0,0]
	v_pk_fma_f32 v[14:15], v[14:15], s[14:15], v[130:131]
	v_pk_fma_f32 v[50:51], v[50:51], s[10:11], v[146:147]
	v_pk_add_f32 v[14:15], v[14:15], v[114:115]
	v_pk_fma_f32 v[50:51], v[136:137], s[2:3], v[50:51] op_sel_hi:[1,0,1]
	v_mov_b32_e32 v111, v53
	v_lshl_add_u32 v5, v99, 3, 0
	v_pk_add_f32 v[118:119], v[14:15], v[50:51]
	v_pk_add_f32 v[14:15], v[14:15], v[50:51] neg_lo:[0,1] neg_hi:[0,1]
	ds_write2_b64 v81, v[110:111], v[38:39] offset0:80 offset1:136
	v_mov_b32_e32 v38, v128
	v_mov_b32_e32 v39, v123
	ds_write_b64 v85, v[38:39]
	v_mov_b32_e32 v38, v34
	v_mov_b32_e32 v39, v37
	;; [unrolled: 1-line block ×5, first 2 shown]
	v_add_u32_e32 v15, 0x1800, v5
	v_mov_b32_e32 v1, v47
	v_mov_b32_e32 v3, v58
	;; [unrolled: 1-line block ×3, first 2 shown]
	ds_write2_b64 v15, v[108:109], v[34:35] offset0:16 offset1:72
	v_pk_add_f32 v[0:1], v[0:1], v[6:7] neg_lo:[0,1] neg_hi:[0,1]
	v_pk_add_f32 v[2:3], v[2:3], v[48:49] neg_lo:[0,1] neg_hi:[0,1]
	v_mov_b32_e32 v6, v116
	v_mov_b32_e32 v7, v131
	;; [unrolled: 1-line block ×6, first 2 shown]
	v_pk_fma_f32 v[6:7], v[2:3], s[8:9], v[6:7] op_sel_hi:[1,0,1] neg_lo:[1,0,1] neg_hi:[1,0,1]
	v_pk_fma_f32 v[34:35], v[0:1], s[6:7], v[34:35] op_sel_hi:[1,0,1] neg_lo:[1,0,1] neg_hi:[1,0,1]
	;; [unrolled: 1-line block ×4, first 2 shown]
	v_mov_b32_e32 v50, v120
	v_mov_b32_e32 v51, v127
	v_add_u32_e32 v81, 0xc00, v160
	v_mov_b32_e32 v127, v121
	v_pk_add_f32 v[6:7], v[6:7], v[114:115]
	v_pk_fma_f32 v[34:35], v[136:137], s[2:3], v[34:35] op_sel_hi:[1,0,1]
	v_pk_add_f32 v[2:3], v[2:3], v[114:115]
	v_pk_fma_f32 v[0:1], v[136:137], s[2:3], v[0:1] op_sel_hi:[1,0,1]
	ds_write2_b64 v81, v[38:39], v[50:51] offset0:120 offset1:176
	ds_write2_b64 v71, v[126:127], v[36:37] offset0:104 offset1:160
	v_pk_add_f32 v[36:37], v[6:7], v[34:35]
	v_pk_add_f32 v[6:7], v[6:7], v[34:35] neg_lo:[0,1] neg_hi:[0,1]
	v_pk_add_f32 v[38:39], v[2:3], v[0:1] neg_lo:[0,1] neg_hi:[0,1]
	v_pk_add_f32 v[0:1], v[2:3], v[0:1]
	v_mov_b32_e32 v34, v36
	v_mov_b32_e32 v35, v7
	;; [unrolled: 1-line block ×4, first 2 shown]
	v_lshl_add_u32 v17, v97, 3, 0
	ds_write2_b64 v15, v[34:35], v[2:3] offset0:128 offset1:184
	v_mov_b32_e32 v1, v39
	v_mov_b32_e32 v7, v37
	v_add_u32_e32 v2, 0x1c00, v5
	v_pk_mul_f32 v[56:57], v[134:135], s[10:11]
	v_pk_mul_f32 v[132:133], v[138:139], s[14:15]
	;; [unrolled: 1-line block ×4, first 2 shown]
	ds_write2_b64 v2, v[0:1], v[6:7] offset0:112 offset1:168
	v_mov_b32_e32 v15, v119
	v_mov_b32_e32 v0, v176
	;; [unrolled: 1-line block ×3, first 2 shown]
	v_add_u32_e32 v2, 0x2000, v17
	v_mov_b32_e32 v145, v153
	v_mov_b32_e32 v151, v142
	;; [unrolled: 1-line block ×3, first 2 shown]
	ds_write_b64 v5, v[14:15] offset:8960
	ds_write2_b64 v2, v[140:141], v[0:1] offset0:152 offset1:208
	v_pk_add_f32 v[0:1], v[144:145], v[20:21] neg_lo:[0,1] neg_hi:[0,1]
	v_pk_add_f32 v[2:3], v[150:151], v[148:149] neg_lo:[0,1] neg_hi:[0,1]
	v_mov_b32_e32 v6, v138
	v_mov_b32_e32 v7, v23
	v_mov_b32_e32 v14, v134
	v_mov_b32_e32 v15, v159
	v_mov_b32_e32 v23, v139
	v_mov_b32_e32 v159, v135
	v_pk_fma_f32 v[6:7], v[2:3], s[8:9], v[6:7] op_sel_hi:[1,0,1] neg_lo:[1,0,1] neg_hi:[1,0,1]
	v_pk_fma_f32 v[14:15], v[0:1], s[6:7], v[14:15] op_sel_hi:[1,0,1] neg_lo:[1,0,1] neg_hi:[1,0,1]
	;; [unrolled: 1-line block ×4, first 2 shown]
	v_pk_add_f32 v[6:7], v[6:7], v[154:155]
	v_pk_fma_f32 v[14:15], v[168:169], s[2:3], v[14:15] op_sel_hi:[1,0,1]
	v_pk_add_f32 v[2:3], v[2:3], v[154:155]
	v_pk_fma_f32 v[0:1], v[168:169], s[2:3], v[0:1] op_sel_hi:[1,0,1]
	v_pk_add_f32 v[20:21], v[6:7], v[14:15]
	v_pk_add_f32 v[6:7], v[6:7], v[14:15] neg_lo:[0,1] neg_hi:[0,1]
	v_pk_add_f32 v[22:23], v[2:3], v[0:1] neg_lo:[0,1] neg_hi:[0,1]
	v_pk_add_f32 v[0:1], v[2:3], v[0:1]
	v_lshl_add_u32 v25, v101, 3, 0
	v_mov_b32_e32 v15, v7
	v_mov_b32_e32 v3, v1
	v_add_u32_e32 v5, 0x2800, v17
	v_mov_b32_e32 v1, v23
	v_mov_b32_e32 v7, v21
	;; [unrolled: 1-line block ×5, first 2 shown]
	ds_write2_b64 v5, v[0:1], v[6:7] offset0:120 offset1:176
	ds_write_b64 v17, v[170:171] offset:12096
	v_mov_b32_e32 v0, v8
	v_mov_b32_e32 v1, v27
	v_add_u32_e32 v8, 0x3000, v25
	v_mov_b32_e32 v31, v33
	v_mov_b32_e32 v29, v24
	;; [unrolled: 1-line block ×3, first 2 shown]
	ds_write2_b64 v5, v[14:15], v[2:3] offset0:8 offset1:64
	ds_write2_b64 v8, v[44:45], v[0:1] offset0:32 offset1:88
	v_pk_add_f32 v[0:1], v[30:31], v[18:19] neg_lo:[0,1] neg_hi:[0,1]
	v_pk_add_f32 v[2:3], v[28:29], v[16:17] neg_lo:[0,1] neg_hi:[0,1]
	v_mov_b32_e32 v4, v132
	v_mov_b32_e32 v5, v43
	;; [unrolled: 1-line block ×6, first 2 shown]
	v_pk_fma_f32 v[4:5], v[2:3], s[8:9], v[4:5] op_sel_hi:[1,0,1] neg_lo:[1,0,1] neg_hi:[1,0,1]
	v_pk_fma_f32 v[6:7], v[0:1], s[6:7], v[6:7] op_sel_hi:[1,0,1] neg_lo:[1,0,1] neg_hi:[1,0,1]
	;; [unrolled: 1-line block ×4, first 2 shown]
	v_pk_add_f32 v[4:5], v[4:5], v[40:41]
	v_pk_fma_f32 v[6:7], v[10:11], s[2:3], v[6:7] op_sel_hi:[1,0,1]
	v_pk_add_f32 v[2:3], v[2:3], v[40:41]
	v_pk_fma_f32 v[0:1], v[10:11], s[2:3], v[0:1] op_sel_hi:[1,0,1]
	v_pk_add_f32 v[14:15], v[4:5], v[6:7]
	v_pk_add_f32 v[4:5], v[4:5], v[6:7] neg_lo:[0,1] neg_hi:[0,1]
	v_pk_add_f32 v[10:11], v[2:3], v[0:1] neg_lo:[0,1] neg_hi:[0,1]
	v_pk_add_f32 v[0:1], v[2:3], v[0:1]
	v_mov_b32_e32 v6, v14
	v_mov_b32_e32 v7, v5
	v_mov_b32_e32 v2, v10
	v_mov_b32_e32 v3, v1
	ds_write2_b64 v8, v[6:7], v[2:3] offset0:144 offset1:200
	v_mov_b32_e32 v1, v11
	v_mov_b32_e32 v5, v15
	v_add_u32_e32 v2, 0x3800, v25
	v_mov_b32_e32 v123, v129
	ds_write2_b64 v2, v[0:1], v[4:5] offset1:56
	v_mov_b32_e32 v27, v9
	v_lshl_add_u64 v[0:1], v[94:95], 3, s[4:5]
	ds_write_b64 v160, v[122:123] offset:5824
	ds_write_b64 v25, v[26:27] offset:15232
	s_waitcnt lgkmcnt(0)
	; wave barrier
	s_waitcnt lgkmcnt(0)
	global_load_dwordx4 v[40:43], v[0:1], off offset:3104
	global_load_dwordx4 v[44:47], v[0:1], off offset:3120
	v_mov_b32_e32 v99, v95
	v_mov_b32_e32 v97, v95
	v_lshl_add_u64 v[8:9], v[98:99], 3, s[4:5]
	v_lshl_add_u64 v[16:17], v[96:97], 3, s[4:5]
	global_load_dwordx4 v[0:3], v[8:9], off offset:3120
	global_load_dwordx4 v[4:7], v[8:9], off offset:3104
	s_nop 0
	global_load_dwordx4 v[8:11], v[16:17], off offset:3120
	global_load_dwordx4 v[12:15], v[16:17], off offset:3104
	v_lshl_add_u64 v[16:17], v[106:107], 3, s[4:5]
	global_load_dwordx4 v[48:51], v[16:17], off offset:3120
	global_load_dwordx4 v[52:55], v[16:17], off offset:3104
	v_lshl_add_u64 v[16:17], v[104:105], 3, s[4:5]
	;; [unrolled: 3-line block ×3, first 2 shown]
	v_mov_b32_e32 v101, v95
	global_load_dwordx4 v[32:35], v[16:17], off offset:3120
	global_load_dwordx4 v[96:99], v[16:17], off offset:3104
	v_lshl_add_u64 v[16:17], v[100:101], 3, s[4:5]
	global_load_dwordx4 v[56:59], v[16:17], off offset:3120
	global_load_dwordx4 v[100:103], v[16:17], off offset:3104
	ds_read2st64_b64 v[20:23], v160 offset1:7
	ds_read2_b64 v[104:107], v77 offset0:96 offset1:152
	ds_read_b64 v[94:95], v87
	ds_read2_b64 v[16:19], v65 offset0:32 offset1:88
	ds_read_b64 v[108:109], v165
	ds_read_b64 v[38:39], v91
	ds_read_b64 v[36:37], v89
	s_mov_b32 s6, 0x3f737871
	s_mov_b32 s8, 0x3f167918
	;; [unrolled: 1-line block ×3, first 2 shown]
	s_add_u32 s4, s4, 0x3d20
	s_addc_u32 s5, s5, 0
	s_waitcnt vmcnt(13) lgkmcnt(4)
	v_pk_mul_f32 v[110:111], v[40:41], v[94:95] op_sel:[0,1]
	s_nop 0
	v_pk_fma_f32 v[112:113], v[40:41], v[94:95], v[110:111] op_sel:[0,0,1] op_sel_hi:[1,1,0] neg_lo:[0,0,1] neg_hi:[0,0,1]
	v_pk_fma_f32 v[40:41], v[40:41], v[94:95], v[110:111] op_sel:[0,0,1] op_sel_hi:[1,0,0]
	s_nop 0
	v_mov_b32_e32 v113, v41
	s_waitcnt lgkmcnt(2)
	v_pk_mul_f32 v[40:41], v[42:43], v[108:109] op_sel:[0,1]
	s_nop 0
	v_pk_fma_f32 v[94:95], v[42:43], v[108:109], v[40:41] op_sel:[0,0,1] op_sel_hi:[1,1,0] neg_lo:[0,0,1] neg_hi:[0,0,1]
	v_pk_fma_f32 v[40:41], v[42:43], v[108:109], v[40:41] op_sel:[0,0,1] op_sel_hi:[1,0,0]
	s_nop 0
	v_mov_b32_e32 v95, v41
	s_waitcnt vmcnt(12)
	v_pk_mul_f32 v[40:41], v[106:107], v[44:45] op_sel:[0,1]
	v_pk_add_f32 v[110:111], v[112:113], v[94:95] neg_lo:[0,1] neg_hi:[0,1]
	v_pk_fma_f32 v[42:43], v[106:107], v[44:45], v[40:41] op_sel:[0,0,1] op_sel_hi:[1,1,0] neg_lo:[0,0,1] neg_hi:[0,0,1]
	v_pk_fma_f32 v[40:41], v[106:107], v[44:45], v[40:41] op_sel:[0,0,1] op_sel_hi:[1,0,0]
	s_nop 0
	v_mov_b32_e32 v40, v47
	v_mov_b32_e32 v43, v41
	v_pk_mul_f32 v[40:41], v[16:17], v[40:41] op_sel_hi:[1,0]
	v_pk_add_f32 v[106:107], v[94:95], v[42:43] neg_lo:[0,1] neg_hi:[0,1]
	v_pk_fma_f32 v[44:45], v[16:17], v[46:47], v[40:41] op_sel:[0,0,1] op_sel_hi:[1,1,0] neg_lo:[0,0,1] neg_hi:[0,0,1]
	v_pk_fma_f32 v[16:17], v[16:17], v[46:47], v[40:41] op_sel:[0,0,1] op_sel_hi:[1,0,0]
	v_pk_mul_f32 v[108:109], v[106:107], s[8:9] op_sel_hi:[1,0]
	v_mov_b32_e32 v45, v17
	v_pk_add_f32 v[16:17], v[20:21], v[112:113]
	v_pk_add_f32 v[40:41], v[112:113], v[44:45] neg_lo:[0,1] neg_hi:[0,1]
	v_pk_add_f32 v[16:17], v[16:17], v[94:95]
	v_pk_mul_f32 v[46:47], v[40:41], s[6:7] op_sel_hi:[1,0]
	v_pk_add_f32 v[16:17], v[16:17], v[42:43]
	v_pk_add_f32 v[114:115], v[44:45], v[42:43] neg_lo:[0,1] neg_hi:[0,1]
	v_pk_add_f32 v[120:121], v[16:17], v[44:45]
	v_pk_add_f32 v[16:17], v[94:95], v[42:43]
	;; [unrolled: 1-line block ×3, first 2 shown]
	v_pk_fma_f32 v[16:17], v[16:17], 0.5, v[20:21] op_sel_hi:[1,0,1] neg_lo:[1,0,0] neg_hi:[1,0,0]
	v_pk_add_f32 v[42:43], v[42:43], v[44:45] neg_lo:[0,1] neg_hi:[0,1]
	v_pk_add_f32 v[114:115], v[16:17], v[46:47] op_sel:[0,1] op_sel_hi:[1,0]
	v_pk_add_f32 v[16:17], v[16:17], v[46:47] op_sel:[0,1] op_sel_hi:[1,0] neg_lo:[0,1] neg_hi:[0,1]
	v_pk_add_f32 v[46:47], v[114:115], v[108:109] op_sel:[0,1] op_sel_hi:[1,0]
	v_pk_add_f32 v[16:17], v[16:17], v[108:109] op_sel:[0,1] op_sel_hi:[1,0] neg_lo:[0,1] neg_hi:[0,1]
	v_mov_b32_e32 v108, v46
	v_mov_b32_e32 v109, v17
	v_pk_fma_f32 v[122:123], v[110:111], s[2:3], v[108:109] op_sel_hi:[1,0,1]
	v_pk_add_f32 v[108:109], v[112:113], v[44:45]
	v_pk_mul_f32 v[44:45], v[106:107], s[6:7] op_sel_hi:[1,0]
	v_pk_fma_f32 v[20:21], v[108:109], 0.5, v[20:21] op_sel_hi:[1,0,1] neg_lo:[1,0,0] neg_hi:[1,0,0]
	ds_read2_b64 v[106:109], v73 offset0:88 offset1:200
	v_pk_add_f32 v[94:95], v[94:95], v[112:113] neg_lo:[0,1] neg_hi:[0,1]
	v_pk_mul_f32 v[40:41], v[40:41], s[8:9] op_sel_hi:[1,0]
	v_pk_add_f32 v[42:43], v[94:95], v[42:43]
	v_pk_add_f32 v[94:95], v[20:21], v[44:45] op_sel:[0,1] op_sel_hi:[1,0] neg_lo:[0,1] neg_hi:[0,1]
	v_pk_add_f32 v[20:21], v[20:21], v[44:45] op_sel:[0,1] op_sel_hi:[1,0]
	v_mov_b32_e32 v17, v47
	v_pk_add_f32 v[20:21], v[20:21], v[40:41] op_sel:[0,1] op_sel_hi:[1,0] neg_lo:[0,1] neg_hi:[0,1]
	v_pk_add_f32 v[40:41], v[94:95], v[40:41] op_sel:[0,1] op_sel_hi:[1,0]
	v_mov_b32_e32 v45, v21
	v_mov_b32_e32 v21, v41
	v_pk_fma_f32 v[128:129], v[42:43], s[2:3], v[20:21] op_sel_hi:[1,0,1]
	s_waitcnt vmcnt(6) lgkmcnt(0)
	v_pk_mul_f32 v[20:21], v[106:107], v[52:53] op_sel:[0,1]
	v_mov_b32_e32 v44, v40
	v_pk_fma_f32 v[130:131], v[110:111], s[2:3], v[16:17] op_sel_hi:[1,0,1]
	v_pk_fma_f32 v[16:17], v[106:107], v[52:53], v[20:21] op_sel:[0,0,1] op_sel_hi:[1,1,0] neg_lo:[0,0,1] neg_hi:[0,0,1]
	v_pk_fma_f32 v[20:21], v[106:107], v[52:53], v[20:21] op_sel:[0,0,1] op_sel_hi:[1,0,0]
	v_pk_fma_f32 v[126:127], v[42:43], s[2:3], v[44:45] op_sel_hi:[1,0,1]
	ds_read2_b64 v[110:113], v67 offset0:176 offset1:232
	ds_read_b64 v[44:45], v160 offset:15232
	v_mov_b32_e32 v20, v55
	v_pk_mul_f32 v[40:41], v[104:105], v[20:21] op_sel_hi:[1,0]
	v_mov_b32_e32 v17, v21
	v_pk_fma_f32 v[20:21], v[104:105], v[54:55], v[40:41] op_sel:[0,0,1] op_sel_hi:[1,1,0] neg_lo:[0,0,1] neg_hi:[0,0,1]
	v_pk_fma_f32 v[40:41], v[104:105], v[54:55], v[40:41] op_sel:[0,0,1] op_sel_hi:[1,0,0]
	ds_read2_b64 v[104:107], v71 offset0:104 offset1:160
	s_waitcnt lgkmcnt(2)
	v_pk_mul_f32 v[42:43], v[112:113], v[48:49] op_sel:[0,1]
	v_mov_b32_e32 v21, v41
	v_pk_fma_f32 v[40:41], v[112:113], v[48:49], v[42:43] op_sel:[0,0,1] op_sel_hi:[1,1,0] neg_lo:[0,0,1] neg_hi:[0,0,1]
	v_pk_fma_f32 v[42:43], v[112:113], v[48:49], v[42:43] op_sel:[0,0,1] op_sel_hi:[1,0,0]
	ds_read2_b64 v[112:115], v69 offset0:112 offset1:168
	ds_read2_b64 v[116:119], v79 offset1:56
	v_mov_b32_e32 v42, v51
	s_waitcnt lgkmcnt(3)
	v_pk_mul_f32 v[46:47], v[44:45], v[42:43] op_sel_hi:[1,0]
	s_waitcnt vmcnt(0) lgkmcnt(2)
	v_pk_mul_f32 v[48:49], v[106:107], v[100:101] op_sel:[0,1]
	v_mov_b32_e32 v41, v43
	v_pk_fma_f32 v[42:43], v[44:45], v[50:51], v[46:47] op_sel:[0,0,1] op_sel_hi:[1,1,0] neg_lo:[0,0,1] neg_hi:[0,0,1]
	v_pk_fma_f32 v[44:45], v[44:45], v[50:51], v[46:47] op_sel:[0,0,1] op_sel_hi:[1,0,0]
	v_pk_fma_f32 v[46:47], v[106:107], v[100:101], v[48:49] op_sel:[0,0,1] op_sel_hi:[1,1,0] neg_lo:[0,0,1] neg_hi:[0,0,1]
	v_pk_fma_f32 v[48:49], v[106:107], v[100:101], v[48:49] op_sel:[0,0,1] op_sel_hi:[1,0,0]
	v_pk_mul_f32 v[52:53], v[110:111], v[56:57] op_sel:[0,1]
	v_mov_b32_e32 v48, v103
	s_waitcnt lgkmcnt(1)
	v_pk_mul_f32 v[50:51], v[114:115], v[48:49] op_sel_hi:[1,0]
	v_mov_b32_e32 v47, v49
	v_pk_fma_f32 v[48:49], v[114:115], v[102:103], v[50:51] op_sel:[0,0,1] op_sel_hi:[1,1,0] neg_lo:[0,0,1] neg_hi:[0,0,1]
	v_pk_fma_f32 v[50:51], v[114:115], v[102:103], v[50:51] op_sel:[0,0,1] op_sel_hi:[1,0,0]
	ds_read2_b64 v[100:103], v67 offset0:64 offset1:120
	v_mov_b32_e32 v49, v51
	v_pk_fma_f32 v[50:51], v[110:111], v[56:57], v[52:53] op_sel:[0,0,1] op_sel_hi:[1,1,0] neg_lo:[0,0,1] neg_hi:[0,0,1]
	v_pk_fma_f32 v[52:53], v[110:111], v[56:57], v[52:53] op_sel:[0,0,1] op_sel_hi:[1,0,0]
	v_mov_b32_e32 v43, v45
	v_mov_b32_e32 v52, v59
	s_waitcnt lgkmcnt(1)
	v_pk_mul_f32 v[54:55], v[118:119], v[52:53] op_sel_hi:[1,0]
	v_mov_b32_e32 v51, v53
	v_pk_fma_f32 v[52:53], v[118:119], v[58:59], v[54:55] op_sel:[0,0,1] op_sel_hi:[1,1,0] neg_lo:[0,0,1] neg_hi:[0,0,1]
	v_pk_fma_f32 v[54:55], v[118:119], v[58:59], v[54:55] op_sel:[0,0,1] op_sel_hi:[1,0,0]
	v_pk_mul_f32 v[58:59], v[104:105], v[96:97] op_sel:[0,1]
	v_mov_b32_e32 v53, v55
	v_pk_fma_f32 v[56:57], v[104:105], v[96:97], v[58:59] op_sel:[0,0,1] op_sel_hi:[1,1,0] neg_lo:[0,0,1] neg_hi:[0,0,1]
	v_pk_fma_f32 v[58:59], v[104:105], v[96:97], v[58:59] op_sel:[0,0,1] op_sel_hi:[1,0,0]
	s_waitcnt lgkmcnt(0)
	v_pk_mul_f32 v[96:97], v[102:103], v[32:33] op_sel:[0,1]
	v_mov_b32_e32 v58, v99
	v_pk_mul_f32 v[94:95], v[112:113], v[58:59] op_sel_hi:[1,0]
	v_mov_b32_e32 v57, v59
	v_pk_fma_f32 v[58:59], v[112:113], v[98:99], v[94:95] op_sel:[0,0,1] op_sel_hi:[1,1,0] neg_lo:[0,0,1] neg_hi:[0,0,1]
	v_pk_fma_f32 v[94:95], v[112:113], v[98:99], v[94:95] op_sel:[0,0,1] op_sel_hi:[1,0,0]
	v_pk_add_f32 v[54:55], v[38:39], v[46:47]
	v_mov_b32_e32 v59, v95
	v_pk_fma_f32 v[94:95], v[102:103], v[32:33], v[96:97] op_sel:[0,0,1] op_sel_hi:[1,1,0] neg_lo:[0,0,1] neg_hi:[0,0,1]
	v_pk_fma_f32 v[32:33], v[102:103], v[32:33], v[96:97] op_sel:[0,0,1] op_sel_hi:[1,0,0]
	ds_read2_b64 v[102:105], v81 offset0:120 offset1:176
	v_mov_b32_e32 v32, v35
	v_pk_mul_f32 v[98:99], v[116:117], v[32:33] op_sel_hi:[1,0]
	v_mov_b32_e32 v95, v33
	v_pk_fma_f32 v[32:33], v[116:117], v[34:35], v[98:99] op_sel:[0,0,1] op_sel_hi:[1,1,0] neg_lo:[0,0,1] neg_hi:[0,0,1]
	v_pk_fma_f32 v[34:35], v[116:117], v[34:35], v[98:99] op_sel:[0,0,1] op_sel_hi:[1,0,0]
	ds_read_b64 v[96:97], v163
	v_mov_b32_e32 v33, v35
	ds_read_b64 v[34:35], v164
	ds_read2_b64 v[110:113], v61 offset0:128 offset1:184
	ds_read2_b64 v[114:117], v65 offset0:144 offset1:200
	s_waitcnt lgkmcnt(4)
	v_pk_mul_f32 v[106:107], v[104:105], v[28:29] op_sel:[0,1]
	s_waitcnt lgkmcnt(3)
	v_pk_add_f32 v[98:99], v[96:97], v[56:57]
	v_pk_fma_f32 v[118:119], v[104:105], v[28:29], v[106:107] op_sel:[0,0,1] op_sel_hi:[1,1,0] neg_lo:[0,0,1] neg_hi:[0,0,1]
	v_pk_fma_f32 v[28:29], v[104:105], v[28:29], v[106:107] op_sel:[0,0,1] op_sel_hi:[1,0,0]
	v_pk_add_f32 v[98:99], v[98:99], v[58:59]
	v_mov_b32_e32 v28, v31
	v_mov_b32_e32 v119, v29
	s_waitcnt lgkmcnt(1)
	v_pk_mul_f32 v[28:29], v[112:113], v[28:29] op_sel_hi:[1,0]
	v_pk_add_f32 v[98:99], v[98:99], v[94:95]
	v_pk_fma_f32 v[104:105], v[112:113], v[30:31], v[28:29] op_sel:[0,0,1] op_sel_hi:[1,1,0] neg_lo:[0,0,1] neg_hi:[0,0,1]
	v_pk_fma_f32 v[28:29], v[112:113], v[30:31], v[28:29] op_sel:[0,0,1] op_sel_hi:[1,0,0]
	v_pk_mul_f32 v[112:113], v[102:103], v[12:13] op_sel:[0,1]
	v_mov_b32_e32 v105, v29
	v_pk_mul_f32 v[28:29], v[100:101], v[24:25] op_sel:[0,1]
	v_pk_add_f32 v[98:99], v[98:99], v[32:33]
	v_pk_fma_f32 v[30:31], v[100:101], v[24:25], v[28:29] op_sel:[0,0,1] op_sel_hi:[1,1,0] neg_lo:[0,0,1] neg_hi:[0,0,1]
	v_pk_fma_f32 v[24:25], v[100:101], v[24:25], v[28:29] op_sel:[0,0,1] op_sel_hi:[1,0,0]
	ds_read_b64 v[100:101], v83
	v_mov_b32_e32 v24, v27
	v_mov_b32_e32 v31, v25
	s_waitcnt lgkmcnt(1)
	v_pk_mul_f32 v[24:25], v[116:117], v[24:25] op_sel_hi:[1,0]
	v_pk_add_f32 v[54:55], v[54:55], v[48:49]
	v_pk_fma_f32 v[28:29], v[116:117], v[26:27], v[24:25] op_sel:[0,0,1] op_sel_hi:[1,1,0] neg_lo:[0,0,1] neg_hi:[0,0,1]
	v_pk_fma_f32 v[24:25], v[116:117], v[26:27], v[24:25] op_sel:[0,0,1] op_sel_hi:[1,0,0]
	v_pk_fma_f32 v[116:117], v[102:103], v[12:13], v[112:113] op_sel:[0,0,1] op_sel_hi:[1,1,0] neg_lo:[0,0,1] neg_hi:[0,0,1]
	v_mov_b32_e32 v29, v25
	v_pk_add_f32 v[24:25], v[34:35], v[118:119]
	v_pk_fma_f32 v[12:13], v[102:103], v[12:13], v[112:113] op_sel:[0,0,1] op_sel_hi:[1,0,0]
	v_pk_add_f32 v[24:25], v[24:25], v[104:105]
	v_mov_b32_e32 v12, v15
	v_pk_add_f32 v[24:25], v[24:25], v[30:31]
	v_mov_b32_e32 v117, v13
	v_pk_add_f32 v[106:107], v[24:25], v[28:29]
	ds_read2_b64 v[24:27], v124 offset0:80 offset1:136
	v_pk_mul_f32 v[12:13], v[110:111], v[12:13] op_sel_hi:[1,0]
	v_pk_add_f32 v[54:55], v[54:55], v[50:51]
	v_pk_fma_f32 v[102:103], v[110:111], v[14:15], v[12:13] op_sel:[0,0,1] op_sel_hi:[1,1,0] neg_lo:[0,0,1] neg_hi:[0,0,1]
	v_pk_fma_f32 v[12:13], v[110:111], v[14:15], v[12:13] op_sel:[0,0,1] op_sel_hi:[1,0,0]
	v_pk_add_f32 v[54:55], v[54:55], v[52:53]
	v_mov_b32_e32 v103, v13
	s_waitcnt lgkmcnt(0)
	v_pk_mul_f32 v[12:13], v[26:27], v[8:9] op_sel:[0,1]
	v_pk_add_f32 v[44:45], v[36:37], v[16:17]
	v_pk_fma_f32 v[14:15], v[26:27], v[8:9], v[12:13] op_sel:[0,0,1] op_sel_hi:[1,1,0] neg_lo:[0,0,1] neg_hi:[0,0,1]
	v_pk_fma_f32 v[8:9], v[26:27], v[8:9], v[12:13] op_sel:[0,0,1] op_sel_hi:[1,0,0]
	v_pk_mul_f32 v[26:27], v[22:23], v[4:5] op_sel:[0,1]
	v_mov_b32_e32 v8, v11
	v_pk_fma_f32 v[110:111], v[22:23], v[4:5], v[26:27] op_sel:[0,0,1] op_sel_hi:[1,1,0] neg_lo:[0,0,1] neg_hi:[0,0,1]
	v_pk_fma_f32 v[4:5], v[22:23], v[4:5], v[26:27] op_sel:[0,0,1] op_sel_hi:[1,0,0]
	v_mov_b32_e32 v15, v9
	v_mov_b32_e32 v4, v7
	v_pk_mul_f32 v[8:9], v[114:115], v[8:9] op_sel_hi:[1,0]
	v_mov_b32_e32 v111, v5
	v_pk_mul_f32 v[4:5], v[108:109], v[4:5] op_sel_hi:[1,0]
	v_pk_fma_f32 v[12:13], v[114:115], v[10:11], v[8:9] op_sel:[0,0,1] op_sel_hi:[1,1,0] neg_lo:[0,0,1] neg_hi:[0,0,1]
	v_pk_fma_f32 v[8:9], v[114:115], v[10:11], v[8:9] op_sel:[0,0,1] op_sel_hi:[1,0,0]
	v_pk_fma_f32 v[22:23], v[108:109], v[6:7], v[4:5] op_sel:[0,0,1] op_sel_hi:[1,1,0] neg_lo:[0,0,1] neg_hi:[0,0,1]
	v_pk_fma_f32 v[4:5], v[108:109], v[6:7], v[4:5] op_sel:[0,0,1] op_sel_hi:[1,0,0]
	v_mov_b32_e32 v13, v9
	ds_read_b64 v[8:9], v75
	v_mov_b32_e32 v23, v5
	v_pk_mul_f32 v[4:5], v[24:25], v[0:1] op_sel:[0,1]
	s_waitcnt lgkmcnt(0)
	v_pk_fma_f32 v[6:7], v[24:25], v[0:1], v[4:5] op_sel:[0,0,1] op_sel_hi:[1,1,0] neg_lo:[0,0,1] neg_hi:[0,0,1]
	v_pk_fma_f32 v[0:1], v[24:25], v[0:1], v[4:5] op_sel:[0,0,1] op_sel_hi:[1,0,0]
	; wave barrier
	s_nop 0
	v_mov_b32_e32 v0, v3
	v_mov_b32_e32 v7, v1
	v_pk_mul_f32 v[0:1], v[18:19], v[0:1] op_sel_hi:[1,0]
	v_pk_add_f32 v[24:25], v[22:23], v[6:7] neg_lo:[0,1] neg_hi:[0,1]
	v_pk_fma_f32 v[4:5], v[18:19], v[2:3], v[0:1] op_sel:[0,0,1] op_sel_hi:[1,1,0] neg_lo:[0,0,1] neg_hi:[0,0,1]
	v_pk_fma_f32 v[0:1], v[18:19], v[2:3], v[0:1] op_sel:[0,0,1] op_sel_hi:[1,0,0]
	v_pk_add_f32 v[108:109], v[110:111], v[22:23] neg_lo:[0,1] neg_hi:[0,1]
	v_mov_b32_e32 v5, v1
	v_pk_add_f32 v[0:1], v[8:9], v[110:111]
	v_pk_add_f32 v[2:3], v[110:111], v[4:5] neg_lo:[0,1] neg_hi:[0,1]
	v_pk_add_f32 v[0:1], v[0:1], v[22:23]
	v_pk_mul_f32 v[18:19], v[2:3], s[6:7] op_sel_hi:[1,0]
	v_pk_add_f32 v[0:1], v[0:1], v[6:7]
	v_pk_add_f32 v[112:113], v[4:5], v[6:7] neg_lo:[0,1] neg_hi:[0,1]
	v_pk_add_f32 v[0:1], v[0:1], v[4:5]
	ds_write_b64 v160, v[120:121]
	ds_write_b64 v160, v[122:123] offset:3136
	ds_write_b64 v160, v[126:127] offset:6272
	;; [unrolled: 1-line block ×4, first 2 shown]
	ds_write_b64 v75, v[0:1]
	v_pk_add_f32 v[0:1], v[22:23], v[6:7]
	v_pk_mul_f32 v[26:27], v[24:25], s[8:9] op_sel_hi:[1,0]
	v_pk_fma_f32 v[0:1], v[0:1], 0.5, v[8:9] op_sel_hi:[1,0,1] neg_lo:[1,0,0] neg_hi:[1,0,0]
	v_pk_add_f32 v[108:109], v[108:109], v[112:113]
	v_pk_add_f32 v[112:113], v[0:1], v[18:19] op_sel:[0,1] op_sel_hi:[1,0]
	v_pk_add_f32 v[0:1], v[0:1], v[18:19] op_sel:[0,1] op_sel_hi:[1,0] neg_lo:[0,1] neg_hi:[0,1]
	v_pk_add_f32 v[18:19], v[112:113], v[26:27] op_sel:[0,1] op_sel_hi:[1,0]
	v_pk_add_f32 v[0:1], v[0:1], v[26:27] op_sel:[0,1] op_sel_hi:[1,0] neg_lo:[0,1] neg_hi:[0,1]
	v_mov_b32_e32 v26, v18
	v_mov_b32_e32 v27, v1
	v_pk_fma_f32 v[26:27], v[108:109], s[2:3], v[26:27] op_sel_hi:[1,0,1]
	ds_write_b64 v75, v[26:27] offset:3136
	v_pk_add_f32 v[26:27], v[110:111], v[4:5]
	v_pk_add_f32 v[22:23], v[22:23], v[110:111] neg_lo:[0,1] neg_hi:[0,1]
	v_pk_fma_f32 v[8:9], v[26:27], 0.5, v[8:9] op_sel_hi:[1,0,1] neg_lo:[1,0,0] neg_hi:[1,0,0]
	v_pk_add_f32 v[4:5], v[6:7], v[4:5] neg_lo:[0,1] neg_hi:[0,1]
	v_pk_mul_f32 v[6:7], v[24:25], s[6:7] op_sel_hi:[1,0]
	v_pk_add_f32 v[4:5], v[22:23], v[4:5]
	v_pk_mul_f32 v[2:3], v[2:3], s[8:9] op_sel_hi:[1,0]
	v_pk_add_f32 v[22:23], v[8:9], v[6:7] op_sel:[0,1] op_sel_hi:[1,0] neg_lo:[0,1] neg_hi:[0,1]
	v_pk_add_f32 v[6:7], v[8:9], v[6:7] op_sel:[0,1] op_sel_hi:[1,0]
	v_pk_add_f32 v[10:11], v[100:101], v[116:117]
	v_pk_add_f32 v[6:7], v[6:7], v[2:3] op_sel:[0,1] op_sel_hi:[1,0] neg_lo:[0,1] neg_hi:[0,1]
	v_pk_add_f32 v[2:3], v[22:23], v[2:3] op_sel:[0,1] op_sel_hi:[1,0]
	v_pk_add_f32 v[10:11], v[10:11], v[102:103]
	v_mov_b32_e32 v8, v2
	v_mov_b32_e32 v9, v7
	;; [unrolled: 1-line block ×4, first 2 shown]
	v_pk_add_f32 v[10:11], v[10:11], v[14:15]
	v_pk_fma_f32 v[8:9], v[4:5], s[2:3], v[8:9] op_sel_hi:[1,0,1]
	v_pk_fma_f32 v[2:3], v[4:5], s[2:3], v[6:7] op_sel_hi:[1,0,1]
	;; [unrolled: 1-line block ×3, first 2 shown]
	v_pk_add_f32 v[10:11], v[10:11], v[12:13]
	ds_write_b64 v75, v[8:9] offset:6272
	ds_write_b64 v75, v[2:3] offset:9408
	;; [unrolled: 1-line block ×3, first 2 shown]
	ds_write_b64 v83, v[10:11]
	v_pk_add_f32 v[0:1], v[102:103], v[14:15]
	v_pk_add_f32 v[2:3], v[116:117], v[12:13] neg_lo:[0,1] neg_hi:[0,1]
	v_pk_fma_f32 v[0:1], v[0:1], 0.5, v[100:101] op_sel_hi:[1,0,1] neg_lo:[1,0,0] neg_hi:[1,0,0]
	v_pk_mul_f32 v[4:5], v[2:3], s[6:7] op_sel_hi:[1,0]
	v_pk_add_f32 v[6:7], v[102:103], v[14:15] neg_lo:[0,1] neg_hi:[0,1]
	v_pk_add_f32 v[10:11], v[116:117], v[102:103] neg_lo:[0,1] neg_hi:[0,1]
	;; [unrolled: 1-line block ×3, first 2 shown]
	v_pk_mul_f32 v[8:9], v[6:7], s[8:9] op_sel_hi:[1,0]
	v_pk_add_f32 v[10:11], v[10:11], v[18:19]
	v_pk_add_f32 v[18:19], v[0:1], v[4:5] op_sel:[0,1] op_sel_hi:[1,0]
	v_pk_add_f32 v[0:1], v[0:1], v[4:5] op_sel:[0,1] op_sel_hi:[1,0] neg_lo:[0,1] neg_hi:[0,1]
	v_pk_add_f32 v[4:5], v[18:19], v[8:9] op_sel:[0,1] op_sel_hi:[1,0]
	v_pk_add_f32 v[0:1], v[0:1], v[8:9] op_sel:[0,1] op_sel_hi:[1,0] neg_lo:[0,1] neg_hi:[0,1]
	v_mov_b32_e32 v8, v4
	v_mov_b32_e32 v9, v1
	v_pk_fma_f32 v[8:9], v[10:11], s[2:3], v[8:9] op_sel_hi:[1,0,1]
	ds_write_b64 v83, v[8:9] offset:3136
	v_pk_add_f32 v[8:9], v[116:117], v[12:13]
	v_pk_mul_f32 v[6:7], v[6:7], s[6:7] op_sel_hi:[1,0]
	v_pk_fma_f32 v[8:9], v[8:9], 0.5, v[100:101] op_sel_hi:[1,0,1] neg_lo:[1,0,0] neg_hi:[1,0,0]
	v_pk_add_f32 v[12:13], v[14:15], v[12:13] neg_lo:[0,1] neg_hi:[0,1]
	v_pk_mul_f32 v[2:3], v[2:3], s[8:9] op_sel_hi:[1,0]
	v_pk_add_f32 v[14:15], v[8:9], v[6:7] op_sel:[0,1] op_sel_hi:[1,0] neg_lo:[0,1] neg_hi:[0,1]
	v_pk_add_f32 v[6:7], v[8:9], v[6:7] op_sel:[0,1] op_sel_hi:[1,0]
	v_pk_add_f32 v[18:19], v[102:103], v[116:117] neg_lo:[0,1] neg_hi:[0,1]
	v_pk_add_f32 v[6:7], v[6:7], v[2:3] op_sel:[0,1] op_sel_hi:[1,0] neg_lo:[0,1] neg_hi:[0,1]
	v_pk_add_f32 v[2:3], v[14:15], v[2:3] op_sel:[0,1] op_sel_hi:[1,0]
	v_pk_add_f32 v[12:13], v[18:19], v[12:13]
	v_mov_b32_e32 v8, v2
	v_mov_b32_e32 v9, v7
	;; [unrolled: 1-line block ×4, first 2 shown]
	v_pk_fma_f32 v[8:9], v[12:13], s[2:3], v[8:9] op_sel_hi:[1,0,1]
	v_pk_fma_f32 v[2:3], v[12:13], s[2:3], v[6:7] op_sel_hi:[1,0,1]
	v_pk_fma_f32 v[0:1], v[10:11], s[2:3], v[0:1] op_sel_hi:[1,0,1]
	ds_write_b64 v83, v[8:9] offset:6272
	ds_write_b64 v83, v[2:3] offset:9408
	;; [unrolled: 1-line block ×3, first 2 shown]
	ds_write_b64 v164, v[106:107]
	v_pk_add_f32 v[0:1], v[104:105], v[30:31]
	v_pk_add_f32 v[2:3], v[118:119], v[28:29] neg_lo:[0,1] neg_hi:[0,1]
	v_pk_fma_f32 v[0:1], v[0:1], 0.5, v[34:35] op_sel_hi:[1,0,1] neg_lo:[1,0,0] neg_hi:[1,0,0]
	v_pk_mul_f32 v[4:5], v[2:3], s[6:7] op_sel_hi:[1,0]
	v_pk_add_f32 v[6:7], v[104:105], v[30:31] neg_lo:[0,1] neg_hi:[0,1]
	v_pk_add_f32 v[10:11], v[118:119], v[104:105] neg_lo:[0,1] neg_hi:[0,1]
	;; [unrolled: 1-line block ×3, first 2 shown]
	v_pk_mul_f32 v[8:9], v[6:7], s[8:9] op_sel_hi:[1,0]
	v_pk_add_f32 v[10:11], v[10:11], v[12:13]
	v_pk_add_f32 v[12:13], v[0:1], v[4:5] op_sel:[0,1] op_sel_hi:[1,0]
	v_pk_add_f32 v[0:1], v[0:1], v[4:5] op_sel:[0,1] op_sel_hi:[1,0] neg_lo:[0,1] neg_hi:[0,1]
	v_pk_add_f32 v[4:5], v[12:13], v[8:9] op_sel:[0,1] op_sel_hi:[1,0]
	v_pk_add_f32 v[0:1], v[0:1], v[8:9] op_sel:[0,1] op_sel_hi:[1,0] neg_lo:[0,1] neg_hi:[0,1]
	v_mov_b32_e32 v8, v4
	v_mov_b32_e32 v9, v1
	v_pk_fma_f32 v[8:9], v[10:11], s[2:3], v[8:9] op_sel_hi:[1,0,1]
	ds_write_b64 v164, v[8:9] offset:3136
	v_pk_add_f32 v[8:9], v[118:119], v[28:29]
	v_pk_add_f32 v[12:13], v[104:105], v[118:119] neg_lo:[0,1] neg_hi:[0,1]
	v_pk_fma_f32 v[8:9], v[8:9], 0.5, v[34:35] op_sel_hi:[1,0,1] neg_lo:[1,0,0] neg_hi:[1,0,0]
	v_pk_add_f32 v[14:15], v[30:31], v[28:29] neg_lo:[0,1] neg_hi:[0,1]
	v_pk_mul_f32 v[6:7], v[6:7], s[6:7] op_sel_hi:[1,0]
	v_pk_add_f32 v[12:13], v[12:13], v[14:15]
	v_pk_mul_f32 v[2:3], v[2:3], s[8:9] op_sel_hi:[1,0]
	v_pk_add_f32 v[14:15], v[8:9], v[6:7] op_sel:[0,1] op_sel_hi:[1,0] neg_lo:[0,1] neg_hi:[0,1]
	v_pk_add_f32 v[6:7], v[8:9], v[6:7] op_sel:[0,1] op_sel_hi:[1,0]
	v_mov_b32_e32 v1, v5
	v_pk_add_f32 v[6:7], v[6:7], v[2:3] op_sel:[0,1] op_sel_hi:[1,0] neg_lo:[0,1] neg_hi:[0,1]
	v_pk_add_f32 v[2:3], v[14:15], v[2:3] op_sel:[0,1] op_sel_hi:[1,0]
	v_mov_b32_e32 v9, v7
	v_mov_b32_e32 v8, v2
	;; [unrolled: 1-line block ×3, first 2 shown]
	v_pk_fma_f32 v[8:9], v[12:13], s[2:3], v[8:9] op_sel_hi:[1,0,1]
	v_pk_fma_f32 v[2:3], v[12:13], s[2:3], v[6:7] op_sel_hi:[1,0,1]
	;; [unrolled: 1-line block ×3, first 2 shown]
	ds_write_b64 v164, v[8:9] offset:6272
	ds_write_b64 v164, v[2:3] offset:9408
	;; [unrolled: 1-line block ×3, first 2 shown]
	ds_write_b64 v163, v[98:99]
	v_pk_add_f32 v[0:1], v[58:59], v[94:95]
	v_pk_add_f32 v[2:3], v[56:57], v[32:33] neg_lo:[0,1] neg_hi:[0,1]
	v_pk_fma_f32 v[0:1], v[0:1], 0.5, v[96:97] op_sel_hi:[1,0,1] neg_lo:[1,0,0] neg_hi:[1,0,0]
	v_pk_mul_f32 v[4:5], v[2:3], s[6:7] op_sel_hi:[1,0]
	v_pk_add_f32 v[6:7], v[58:59], v[94:95] neg_lo:[0,1] neg_hi:[0,1]
	v_pk_add_f32 v[10:11], v[56:57], v[58:59] neg_lo:[0,1] neg_hi:[0,1]
	;; [unrolled: 1-line block ×3, first 2 shown]
	v_pk_mul_f32 v[8:9], v[6:7], s[8:9] op_sel_hi:[1,0]
	v_pk_add_f32 v[10:11], v[10:11], v[12:13]
	v_pk_add_f32 v[12:13], v[0:1], v[4:5] op_sel:[0,1] op_sel_hi:[1,0]
	v_pk_add_f32 v[0:1], v[0:1], v[4:5] op_sel:[0,1] op_sel_hi:[1,0] neg_lo:[0,1] neg_hi:[0,1]
	v_pk_add_f32 v[4:5], v[12:13], v[8:9] op_sel:[0,1] op_sel_hi:[1,0]
	v_pk_add_f32 v[0:1], v[0:1], v[8:9] op_sel:[0,1] op_sel_hi:[1,0] neg_lo:[0,1] neg_hi:[0,1]
	v_mov_b32_e32 v8, v4
	v_mov_b32_e32 v9, v1
	v_pk_fma_f32 v[8:9], v[10:11], s[2:3], v[8:9] op_sel_hi:[1,0,1]
	ds_write_b64 v163, v[8:9] offset:3136
	v_pk_add_f32 v[8:9], v[56:57], v[32:33]
	v_pk_add_f32 v[12:13], v[58:59], v[56:57] neg_lo:[0,1] neg_hi:[0,1]
	v_pk_fma_f32 v[8:9], v[8:9], 0.5, v[96:97] op_sel_hi:[1,0,1] neg_lo:[1,0,0] neg_hi:[1,0,0]
	v_pk_add_f32 v[14:15], v[94:95], v[32:33] neg_lo:[0,1] neg_hi:[0,1]
	v_pk_mul_f32 v[6:7], v[6:7], s[6:7] op_sel_hi:[1,0]
	v_pk_add_f32 v[12:13], v[12:13], v[14:15]
	v_pk_mul_f32 v[2:3], v[2:3], s[8:9] op_sel_hi:[1,0]
	v_pk_add_f32 v[14:15], v[8:9], v[6:7] op_sel:[0,1] op_sel_hi:[1,0] neg_lo:[0,1] neg_hi:[0,1]
	v_pk_add_f32 v[6:7], v[8:9], v[6:7] op_sel:[0,1] op_sel_hi:[1,0]
	v_mov_b32_e32 v1, v5
	v_pk_add_f32 v[6:7], v[6:7], v[2:3] op_sel:[0,1] op_sel_hi:[1,0] neg_lo:[0,1] neg_hi:[0,1]
	v_pk_add_f32 v[2:3], v[14:15], v[2:3] op_sel:[0,1] op_sel_hi:[1,0]
	v_mov_b32_e32 v9, v7
	v_mov_b32_e32 v8, v2
	;; [unrolled: 1-line block ×3, first 2 shown]
	v_pk_fma_f32 v[8:9], v[12:13], s[2:3], v[8:9] op_sel_hi:[1,0,1]
	v_pk_fma_f32 v[2:3], v[12:13], s[2:3], v[6:7] op_sel_hi:[1,0,1]
	;; [unrolled: 1-line block ×3, first 2 shown]
	ds_write_b64 v163, v[8:9] offset:6272
	ds_write_b64 v163, v[2:3] offset:9408
	ds_write_b64 v163, v[0:1] offset:12544
	ds_write_b64 v91, v[54:55]
	v_pk_add_f32 v[0:1], v[48:49], v[50:51]
	v_pk_add_f32 v[2:3], v[46:47], v[52:53] neg_lo:[0,1] neg_hi:[0,1]
	v_pk_fma_f32 v[0:1], v[0:1], 0.5, v[38:39] op_sel_hi:[1,0,1] neg_lo:[1,0,0] neg_hi:[1,0,0]
	v_pk_mul_f32 v[4:5], v[2:3], s[6:7] op_sel_hi:[1,0]
	v_pk_add_f32 v[6:7], v[48:49], v[50:51] neg_lo:[0,1] neg_hi:[0,1]
	v_pk_add_f32 v[10:11], v[46:47], v[48:49] neg_lo:[0,1] neg_hi:[0,1]
	;; [unrolled: 1-line block ×3, first 2 shown]
	v_pk_mul_f32 v[8:9], v[6:7], s[8:9] op_sel_hi:[1,0]
	v_pk_add_f32 v[10:11], v[10:11], v[12:13]
	v_pk_add_f32 v[12:13], v[0:1], v[4:5] op_sel:[0,1] op_sel_hi:[1,0]
	v_pk_add_f32 v[0:1], v[0:1], v[4:5] op_sel:[0,1] op_sel_hi:[1,0] neg_lo:[0,1] neg_hi:[0,1]
	v_pk_add_f32 v[4:5], v[12:13], v[8:9] op_sel:[0,1] op_sel_hi:[1,0]
	v_pk_add_f32 v[0:1], v[0:1], v[8:9] op_sel:[0,1] op_sel_hi:[1,0] neg_lo:[0,1] neg_hi:[0,1]
	v_mov_b32_e32 v8, v4
	v_mov_b32_e32 v9, v1
	v_pk_fma_f32 v[8:9], v[10:11], s[2:3], v[8:9] op_sel_hi:[1,0,1]
	ds_write_b64 v91, v[8:9] offset:3136
	v_pk_add_f32 v[8:9], v[46:47], v[52:53]
	v_pk_add_f32 v[12:13], v[48:49], v[46:47] neg_lo:[0,1] neg_hi:[0,1]
	v_pk_fma_f32 v[8:9], v[8:9], 0.5, v[38:39] op_sel_hi:[1,0,1] neg_lo:[1,0,0] neg_hi:[1,0,0]
	v_pk_add_f32 v[14:15], v[50:51], v[52:53] neg_lo:[0,1] neg_hi:[0,1]
	v_pk_mul_f32 v[6:7], v[6:7], s[6:7] op_sel_hi:[1,0]
	v_pk_add_f32 v[12:13], v[12:13], v[14:15]
	v_pk_mul_f32 v[2:3], v[2:3], s[8:9] op_sel_hi:[1,0]
	v_pk_add_f32 v[14:15], v[8:9], v[6:7] op_sel:[0,1] op_sel_hi:[1,0] neg_lo:[0,1] neg_hi:[0,1]
	v_pk_add_f32 v[6:7], v[8:9], v[6:7] op_sel:[0,1] op_sel_hi:[1,0]
	v_pk_add_f32 v[44:45], v[44:45], v[20:21]
	v_pk_add_f32 v[6:7], v[6:7], v[2:3] op_sel:[0,1] op_sel_hi:[1,0] neg_lo:[0,1] neg_hi:[0,1]
	v_pk_add_f32 v[2:3], v[14:15], v[2:3] op_sel:[0,1] op_sel_hi:[1,0]
	v_mov_b32_e32 v9, v7
	v_mov_b32_e32 v8, v2
	;; [unrolled: 1-line block ×4, first 2 shown]
	v_pk_add_f32 v[44:45], v[44:45], v[40:41]
	v_pk_fma_f32 v[8:9], v[12:13], s[2:3], v[8:9] op_sel_hi:[1,0,1]
	v_pk_fma_f32 v[2:3], v[12:13], s[2:3], v[6:7] op_sel_hi:[1,0,1]
	;; [unrolled: 1-line block ×3, first 2 shown]
	v_pk_add_f32 v[44:45], v[44:45], v[42:43]
	ds_write_b64 v91, v[8:9] offset:6272
	ds_write_b64 v91, v[2:3] offset:9408
	;; [unrolled: 1-line block ×3, first 2 shown]
	ds_write_b64 v89, v[44:45]
	v_pk_add_f32 v[0:1], v[20:21], v[40:41]
	v_pk_add_f32 v[2:3], v[16:17], v[42:43] neg_lo:[0,1] neg_hi:[0,1]
	v_pk_fma_f32 v[0:1], v[0:1], 0.5, v[36:37] op_sel_hi:[1,0,1] neg_lo:[1,0,0] neg_hi:[1,0,0]
	v_pk_mul_f32 v[4:5], v[2:3], s[6:7] op_sel_hi:[1,0]
	v_pk_add_f32 v[6:7], v[20:21], v[40:41] neg_lo:[0,1] neg_hi:[0,1]
	v_pk_add_f32 v[10:11], v[16:17], v[20:21] neg_lo:[0,1] neg_hi:[0,1]
	;; [unrolled: 1-line block ×3, first 2 shown]
	v_pk_mul_f32 v[8:9], v[6:7], s[8:9] op_sel_hi:[1,0]
	v_pk_add_f32 v[10:11], v[10:11], v[12:13]
	v_pk_add_f32 v[12:13], v[0:1], v[4:5] op_sel:[0,1] op_sel_hi:[1,0]
	v_pk_add_f32 v[0:1], v[0:1], v[4:5] op_sel:[0,1] op_sel_hi:[1,0] neg_lo:[0,1] neg_hi:[0,1]
	v_pk_add_f32 v[4:5], v[12:13], v[8:9] op_sel:[0,1] op_sel_hi:[1,0]
	v_pk_add_f32 v[0:1], v[0:1], v[8:9] op_sel:[0,1] op_sel_hi:[1,0] neg_lo:[0,1] neg_hi:[0,1]
	v_mov_b32_e32 v8, v4
	v_mov_b32_e32 v9, v1
	v_pk_fma_f32 v[8:9], v[10:11], s[2:3], v[8:9] op_sel_hi:[1,0,1]
	ds_write_b64 v89, v[8:9] offset:3136
	v_pk_add_f32 v[8:9], v[16:17], v[42:43]
	v_pk_add_f32 v[12:13], v[20:21], v[16:17] neg_lo:[0,1] neg_hi:[0,1]
	v_pk_fma_f32 v[8:9], v[8:9], 0.5, v[36:37] op_sel_hi:[1,0,1] neg_lo:[1,0,0] neg_hi:[1,0,0]
	v_pk_add_f32 v[14:15], v[40:41], v[42:43] neg_lo:[0,1] neg_hi:[0,1]
	v_pk_mul_f32 v[6:7], v[6:7], s[6:7] op_sel_hi:[1,0]
	v_pk_add_f32 v[12:13], v[12:13], v[14:15]
	v_pk_mul_f32 v[2:3], v[2:3], s[8:9] op_sel_hi:[1,0]
	v_pk_add_f32 v[14:15], v[8:9], v[6:7] op_sel:[0,1] op_sel_hi:[1,0] neg_lo:[0,1] neg_hi:[0,1]
	v_pk_add_f32 v[6:7], v[8:9], v[6:7] op_sel:[0,1] op_sel_hi:[1,0]
	v_mov_b32_e32 v1, v5
	v_pk_add_f32 v[6:7], v[6:7], v[2:3] op_sel:[0,1] op_sel_hi:[1,0] neg_lo:[0,1] neg_hi:[0,1]
	v_pk_add_f32 v[2:3], v[14:15], v[2:3] op_sel:[0,1] op_sel_hi:[1,0]
	v_mov_b32_e32 v9, v7
	v_mov_b32_e32 v8, v2
	;; [unrolled: 1-line block ×3, first 2 shown]
	v_pk_fma_f32 v[8:9], v[12:13], s[2:3], v[8:9] op_sel_hi:[1,0,1]
	v_pk_fma_f32 v[2:3], v[12:13], s[2:3], v[6:7] op_sel_hi:[1,0,1]
	;; [unrolled: 1-line block ×3, first 2 shown]
	ds_write_b64 v89, v[8:9] offset:6272
	ds_write_b64 v89, v[2:3] offset:9408
	;; [unrolled: 1-line block ×3, first 2 shown]
	s_waitcnt lgkmcnt(0)
	; wave barrier
	s_waitcnt lgkmcnt(0)
	ds_read_b64 v[6:7], v160
	v_lshlrev_b32_e32 v0, 3, v60
	v_sub_u32_e32 v8, 0, v0
	v_cmp_ne_u32_e64 s[2:3], 0, v60
                                        ; implicit-def: $vgpr4_vgpr5
                                        ; implicit-def: $vgpr3
                                        ; implicit-def: $vgpr0_vgpr1
	s_and_saveexec_b64 s[6:7], s[2:3]
	s_xor_b64 s[2:3], exec, s[6:7]
	s_cbranch_execz .LBB0_21
; %bb.20:
	v_mov_b32_e32 v61, 0
	v_lshl_add_u64 v[0:1], v[60:61], 3, s[4:5]
	global_load_dwordx2 v[0:1], v[0:1], off
	ds_read_b64 v[2:3], v8 offset:15680
	v_mov_b32_e32 v5, 0.5
	v_mov_b32_e32 v10, v5
	s_waitcnt lgkmcnt(0)
	v_pk_add_f32 v[12:13], v[2:3], v[6:7]
	v_pk_add_f32 v[2:3], v[6:7], v[2:3] neg_lo:[0,1] neg_hi:[0,1]
	v_mov_b32_e32 v6, v13
	v_mov_b32_e32 v7, v2
	v_pk_mul_f32 v[6:7], v[6:7], 0.5 op_sel_hi:[1,0]
	s_waitcnt vmcnt(0)
	v_mov_b32_e32 v4, v1
	v_mov_b32_e32 v2, v7
	;; [unrolled: 1-line block ×4, first 2 shown]
	v_pk_mul_f32 v[2:3], v[4:5], v[2:3]
	v_pk_mul_f32 v[14:15], v[0:1], v[6:7] op_sel_hi:[0,1]
	v_pk_fma_f32 v[4:5], v[12:13], v[10:11], v[2:3]
	v_pk_fma_f32 v[10:11], v[12:13], v[10:11], v[2:3] neg_lo:[0,0,1] neg_hi:[0,0,1]
	v_add_f32_e32 v2, v14, v4
	v_sub_f32_e32 v3, v5, v15
	v_pk_fma_f32 v[4:5], v[0:1], v[6:7], v[10:11] op_sel_hi:[0,1,1] neg_lo:[1,0,0] neg_hi:[1,0,0]
	ds_write_b32 v160, v2
	v_mov_b64_e32 v[0:1], v[60:61]
                                        ; implicit-def: $vgpr6_vgpr7
.LBB0_21:
	s_andn2_saveexec_b64 s[2:3], s[2:3]
	s_cbranch_execz .LBB0_23
; %bb.22:
	s_waitcnt lgkmcnt(0)
	v_mov_b32_e32 v0, v7
	v_pk_add_f32 v[2:3], v[6:7], v[0:1] neg_lo:[0,1] neg_hi:[0,1]
	v_add_f32_e32 v5, v7, v6
	v_mov_b32_e32 v3, 0
	ds_read_b32 v4, v3 offset:7844
	v_mov_b64_e32 v[0:1], 0
	ds_write_b32 v160, v5
	s_waitcnt lgkmcnt(1)
	v_xor_b32_e32 v4, 0x80000000, v4
	ds_write_b32 v3, v4 offset:7844
	v_mov_b64_e32 v[4:5], v[2:3]
.LBB0_23:
	s_or_b64 exec, exec, s[2:3]
	v_mov_b32_e32 v65, 0
	s_waitcnt lgkmcnt(0)
	v_lshl_add_u64 v[6:7], v[64:65], 3, s[4:5]
	global_load_dwordx2 v[6:7], v[6:7], off
	v_mov_b32_e32 v81, v65
	v_lshl_add_u64 v[10:11], v[80:81], 3, s[4:5]
	global_load_dwordx2 v[10:11], v[10:11], off
	v_mov_b32_e32 v77, v65
	;; [unrolled: 3-line block ×3, first 2 shown]
	ds_write_b32 v160, v3 offset:4
	ds_write_b64 v8, v[4:5] offset:15680
	v_lshl_add_u64 v[2:3], v[78:79], 3, s[4:5]
	global_load_dwordx2 v[4:5], v[2:3], off
	v_mov_b32_e32 v69, v65
	v_lshl_add_u64 v[26:27], v[68:69], 3, s[4:5]
	ds_read_b64 v[14:15], v75
	ds_read_b64 v[16:17], v8 offset:15232
	global_load_dwordx2 v[26:27], v[26:27], off
	v_mov_b32_e32 v3, 0.5
	v_mov_b32_e32 v18, v3
	v_mov_b32_e32 v67, v65
	s_waitcnt lgkmcnt(0)
	v_pk_add_f32 v[28:29], v[14:15], v[16:17]
	v_pk_add_f32 v[14:15], v[14:15], v[16:17] neg_lo:[0,1] neg_hi:[0,1]
	v_mov_b32_e32 v16, v29
	v_mov_b32_e32 v17, v14
	v_pk_mul_f32 v[16:17], v[16:17], 0.5 op_sel_hi:[1,0]
	v_mov_b32_e32 v20, v3
	v_mov_b32_e32 v14, v17
	;; [unrolled: 1-line block ×7, first 2 shown]
	s_waitcnt vmcnt(4)
	v_mov_b32_e32 v2, v7
	v_mov_b32_e32 v19, v7
	v_pk_mul_f32 v[14:15], v[2:3], v[14:15]
	s_waitcnt vmcnt(3)
	v_mov_b32_e32 v2, v11
	v_pk_fma_f32 v[30:31], v[28:29], v[18:19], v[14:15]
	v_pk_fma_f32 v[14:15], v[28:29], v[18:19], v[14:15] neg_lo:[0,0,1] neg_hi:[0,0,1]
	v_pk_fma_f32 v[18:19], v[6:7], v[16:17], v[30:31]
	v_pk_fma_f32 v[28:29], v[6:7], v[16:17], v[30:31] op_sel_hi:[0,1,1] neg_lo:[1,0,0] neg_hi:[1,0,0]
	v_mov_b32_e32 v19, v29
	v_pk_fma_f32 v[6:7], v[6:7], v[16:17], v[14:15] op_sel_hi:[0,1,1] neg_lo:[1,0,0] neg_hi:[1,0,0]
	ds_write_b64 v75, v[18:19]
	ds_write_b64 v8, v[6:7] offset:15232
	v_lshl_add_u64 v[16:17], v[66:67], 3, s[4:5]
	ds_read_b64 v[6:7], v83
	ds_read_b64 v[14:15], v8 offset:14784
	global_load_dwordx2 v[16:17], v[16:17], off
	v_mov_b32_e32 v21, v11
	s_waitcnt vmcnt(3)
	v_mov_b32_e32 v23, v13
	s_waitcnt vmcnt(2)
	v_mov_b32_e32 v25, v5
	s_waitcnt lgkmcnt(0)
	v_pk_add_f32 v[18:19], v[6:7], v[14:15]
	v_pk_add_f32 v[6:7], v[6:7], v[14:15] neg_lo:[0,1] neg_hi:[0,1]
	v_mov_b32_e32 v14, v19
	v_mov_b32_e32 v15, v6
	v_pk_mul_f32 v[14:15], v[14:15], 0.5 op_sel_hi:[1,0]
	v_mov_b32_e32 v75, v65
	v_mov_b32_e32 v6, v15
	;; [unrolled: 1-line block ×3, first 2 shown]
	v_pk_mul_f32 v[6:7], v[2:3], v[6:7]
	v_mov_b32_e32 v2, v13
	v_pk_fma_f32 v[28:29], v[18:19], v[20:21], v[6:7]
	v_pk_fma_f32 v[6:7], v[18:19], v[20:21], v[6:7] neg_lo:[0,0,1] neg_hi:[0,0,1]
	v_pk_fma_f32 v[18:19], v[10:11], v[14:15], v[28:29]
	v_pk_fma_f32 v[20:21], v[10:11], v[14:15], v[28:29] op_sel_hi:[0,1,1] neg_lo:[1,0,0] neg_hi:[1,0,0]
	v_mov_b32_e32 v19, v21
	v_pk_fma_f32 v[6:7], v[10:11], v[14:15], v[6:7] op_sel_hi:[0,1,1] neg_lo:[1,0,0] neg_hi:[1,0,0]
	ds_write_b64 v83, v[18:19]
	ds_write_b64 v8, v[6:7] offset:14784
	v_lshl_add_u64 v[14:15], v[72:73], 3, s[4:5]
	ds_read_b64 v[6:7], v164
	ds_read_b64 v[10:11], v8 offset:14336
	global_load_dwordx2 v[14:15], v[14:15], off
	v_mov_b32_e32 v83, v65
	s_waitcnt lgkmcnt(0)
	v_pk_add_f32 v[18:19], v[6:7], v[10:11]
	v_pk_add_f32 v[6:7], v[6:7], v[10:11] neg_lo:[0,1] neg_hi:[0,1]
	v_mov_b32_e32 v10, v19
	v_mov_b32_e32 v11, v6
	v_pk_mul_f32 v[10:11], v[10:11], 0.5 op_sel_hi:[1,0]
	s_nop 0
	v_mov_b32_e32 v6, v11
	v_mov_b32_e32 v19, v10
	v_pk_mul_f32 v[6:7], v[2:3], v[6:7]
	v_mov_b32_e32 v2, v5
	v_pk_fma_f32 v[20:21], v[18:19], v[22:23], v[6:7]
	v_pk_fma_f32 v[6:7], v[18:19], v[22:23], v[6:7] neg_lo:[0,0,1] neg_hi:[0,0,1]
	v_pk_fma_f32 v[18:19], v[12:13], v[10:11], v[20:21]
	v_pk_fma_f32 v[20:21], v[12:13], v[10:11], v[20:21] op_sel_hi:[0,1,1] neg_lo:[1,0,0] neg_hi:[1,0,0]
	v_mov_b32_e32 v19, v21
	v_pk_fma_f32 v[6:7], v[12:13], v[10:11], v[6:7] op_sel_hi:[0,1,1] neg_lo:[1,0,0] neg_hi:[1,0,0]
	ds_write_b64 v164, v[18:19]
	ds_write_b64 v8, v[6:7] offset:14336
	v_lshl_add_u64 v[12:13], v[70:71], 3, s[4:5]
	ds_read_b64 v[6:7], v163
	ds_read_b64 v[10:11], v8 offset:13888
	global_load_dwordx2 v[12:13], v[12:13], off
	s_waitcnt lgkmcnt(0)
	v_pk_add_f32 v[18:19], v[6:7], v[10:11]
	v_pk_add_f32 v[6:7], v[6:7], v[10:11] neg_lo:[0,1] neg_hi:[0,1]
	v_mov_b32_e32 v10, v19
	v_mov_b32_e32 v11, v6
	v_pk_mul_f32 v[10:11], v[10:11], 0.5 op_sel_hi:[1,0]
	s_nop 0
	v_mov_b32_e32 v6, v11
	v_mov_b32_e32 v19, v10
	v_pk_mul_f32 v[6:7], v[2:3], v[6:7]
	s_waitcnt vmcnt(3)
	v_mov_b32_e32 v2, v27
	v_pk_fma_f32 v[20:21], v[18:19], v[24:25], v[6:7]
	v_pk_fma_f32 v[6:7], v[18:19], v[24:25], v[6:7] neg_lo:[0,0,1] neg_hi:[0,0,1]
	v_pk_fma_f32 v[18:19], v[4:5], v[10:11], v[20:21]
	v_pk_fma_f32 v[20:21], v[4:5], v[10:11], v[20:21] op_sel_hi:[0,1,1] neg_lo:[1,0,0] neg_hi:[1,0,0]
	v_mov_b32_e32 v19, v21
	v_pk_fma_f32 v[4:5], v[4:5], v[10:11], v[6:7] op_sel_hi:[0,1,1] neg_lo:[1,0,0] neg_hi:[1,0,0]
	ds_write_b64 v163, v[18:19]
	ds_write_b64 v8, v[4:5] offset:13888
	ds_read_b64 v[6:7], v91
	ds_read_b64 v[10:11], v8 offset:13440
	v_mov_b32_e32 v18, v3
	v_mov_b32_e32 v19, v27
	v_lshl_add_u64 v[4:5], v[0:1], 3, s[4:5]
	s_waitcnt lgkmcnt(0)
	v_pk_add_f32 v[20:21], v[6:7], v[10:11]
	v_pk_add_f32 v[6:7], v[6:7], v[10:11] neg_lo:[0,1] neg_hi:[0,1]
	v_mov_b32_e32 v10, v21
	v_mov_b32_e32 v11, v6
	v_pk_mul_f32 v[10:11], v[10:11], 0.5 op_sel_hi:[1,0]
	s_nop 0
	v_mov_b32_e32 v6, v11
	v_mov_b32_e32 v21, v10
	v_pk_mul_f32 v[6:7], v[2:3], v[6:7]
	s_waitcnt vmcnt(2)
	v_mov_b32_e32 v2, v17
	v_pk_fma_f32 v[22:23], v[20:21], v[18:19], v[6:7]
	v_pk_fma_f32 v[6:7], v[20:21], v[18:19], v[6:7] neg_lo:[0,0,1] neg_hi:[0,0,1]
	v_pk_fma_f32 v[18:19], v[26:27], v[10:11], v[22:23]
	v_pk_fma_f32 v[20:21], v[26:27], v[10:11], v[22:23] op_sel_hi:[0,1,1] neg_lo:[1,0,0] neg_hi:[1,0,0]
	v_mov_b32_e32 v19, v21
	v_pk_fma_f32 v[6:7], v[26:27], v[10:11], v[6:7] op_sel_hi:[0,1,1] neg_lo:[1,0,0] neg_hi:[1,0,0]
	ds_write_b64 v91, v[18:19]
	ds_write_b64 v8, v[6:7] offset:13440
	ds_read_b64 v[6:7], v89
	ds_read_b64 v[10:11], v8 offset:12992
	global_load_dwordx2 v[20:21], v[4:5], off offset:4032
	v_mov_b32_e32 v18, v3
	v_mov_b32_e32 v19, v17
	;; [unrolled: 1-line block ×3, first 2 shown]
	s_waitcnt lgkmcnt(0)
	v_pk_add_f32 v[22:23], v[6:7], v[10:11]
	v_pk_add_f32 v[6:7], v[6:7], v[10:11] neg_lo:[0,1] neg_hi:[0,1]
	v_mov_b32_e32 v10, v23
	v_mov_b32_e32 v11, v6
	v_pk_mul_f32 v[10:11], v[10:11], 0.5 op_sel_hi:[1,0]
	s_nop 0
	v_mov_b32_e32 v6, v11
	v_mov_b32_e32 v23, v10
	v_pk_mul_f32 v[6:7], v[2:3], v[6:7]
	s_waitcnt vmcnt(2)
	v_mov_b32_e32 v2, v15
	v_pk_fma_f32 v[24:25], v[22:23], v[18:19], v[6:7]
	v_pk_fma_f32 v[6:7], v[22:23], v[18:19], v[6:7] neg_lo:[0,0,1] neg_hi:[0,0,1]
	v_pk_fma_f32 v[18:19], v[16:17], v[10:11], v[24:25]
	v_pk_fma_f32 v[22:23], v[16:17], v[10:11], v[24:25] op_sel_hi:[0,1,1] neg_lo:[1,0,0] neg_hi:[1,0,0]
	v_mov_b32_e32 v19, v23
	v_pk_fma_f32 v[6:7], v[16:17], v[10:11], v[6:7] op_sel_hi:[0,1,1] neg_lo:[1,0,0] neg_hi:[1,0,0]
	ds_write_b64 v89, v[18:19]
	ds_write_b64 v8, v[6:7] offset:12992
	ds_read_b64 v[6:7], v87
	ds_read_b64 v[10:11], v8 offset:12544
	v_lshl_add_u64 v[22:23], v[82:83], 3, s[4:5]
	global_load_dwordx2 v[22:23], v[22:23], off
	v_mov_b32_e32 v16, v3
	v_mov_b32_e32 v17, v15
	s_waitcnt lgkmcnt(0)
	v_pk_add_f32 v[18:19], v[6:7], v[10:11]
	v_pk_add_f32 v[6:7], v[6:7], v[10:11] neg_lo:[0,1] neg_hi:[0,1]
	v_mov_b32_e32 v10, v19
	v_mov_b32_e32 v11, v6
	v_pk_mul_f32 v[10:11], v[10:11], 0.5 op_sel_hi:[1,0]
	v_mov_b32_e32 v89, v65
	v_mov_b32_e32 v6, v11
	;; [unrolled: 1-line block ×3, first 2 shown]
	v_pk_mul_f32 v[6:7], v[2:3], v[6:7]
	s_waitcnt vmcnt(2)
	v_mov_b32_e32 v2, v13
	v_pk_fma_f32 v[24:25], v[18:19], v[16:17], v[6:7]
	v_pk_fma_f32 v[6:7], v[18:19], v[16:17], v[6:7] neg_lo:[0,0,1] neg_hi:[0,0,1]
	v_pk_fma_f32 v[26:27], v[14:15], v[10:11], v[24:25]
	v_pk_fma_f32 v[24:25], v[14:15], v[10:11], v[24:25] op_sel_hi:[0,1,1] neg_lo:[1,0,0] neg_hi:[1,0,0]
	v_mov_b32_e32 v27, v25
	ds_write_b64 v87, v[26:27]
	v_pk_fma_f32 v[6:7], v[14:15], v[10:11], v[6:7] op_sel_hi:[0,1,1] neg_lo:[1,0,0] neg_hi:[1,0,0]
	v_mov_b32_e32 v87, v65
	ds_write_b64 v8, v[6:7] offset:12544
	v_lshl_add_u64 v[16:17], v[86:87], 3, s[4:5]
	ds_read_b64 v[6:7], v85
	ds_read_b64 v[10:11], v8 offset:12096
	global_load_dwordx2 v[16:17], v[16:17], off
	v_mov_b32_e32 v18, v3
	v_mov_b32_e32 v19, v13
	s_waitcnt lgkmcnt(0)
	v_pk_add_f32 v[14:15], v[6:7], v[10:11]
	v_pk_add_f32 v[6:7], v[6:7], v[10:11] neg_lo:[0,1] neg_hi:[0,1]
	v_mov_b32_e32 v10, v15
	v_mov_b32_e32 v11, v6
	v_pk_mul_f32 v[10:11], v[10:11], 0.5 op_sel_hi:[1,0]
	s_nop 0
	v_mov_b32_e32 v6, v11
	v_pk_mul_f32 v[6:7], v[2:3], v[6:7]
	v_mov_b32_e32 v15, v10
	v_pk_fma_f32 v[24:25], v[14:15], v[18:19], v[6:7]
	v_pk_fma_f32 v[6:7], v[14:15], v[18:19], v[6:7] neg_lo:[0,0,1] neg_hi:[0,0,1]
	v_pk_fma_f32 v[26:27], v[12:13], v[10:11], v[24:25]
	v_pk_fma_f32 v[24:25], v[12:13], v[10:11], v[24:25] op_sel_hi:[0,1,1] neg_lo:[1,0,0] neg_hi:[1,0,0]
	v_mov_b32_e32 v27, v25
	v_pk_fma_f32 v[6:7], v[12:13], v[10:11], v[6:7] op_sel_hi:[0,1,1] neg_lo:[1,0,0] neg_hi:[1,0,0]
	ds_write_b64 v85, v[26:27]
	ds_write_b64 v8, v[6:7] offset:12096
	v_lshl_add_u64 v[18:19], v[90:91], 3, s[4:5]
	ds_read_b64 v[6:7], v160 offset:4032
	ds_read_b64 v[10:11], v8 offset:11648
	global_load_dwordx2 v[18:19], v[18:19], off
	v_mov_b32_e32 v14, v3
	v_mov_b32_e32 v85, v65
	s_waitcnt lgkmcnt(0)
	v_pk_add_f32 v[12:13], v[6:7], v[10:11]
	v_pk_add_f32 v[6:7], v[6:7], v[10:11] neg_lo:[0,1] neg_hi:[0,1]
	v_mov_b32_e32 v10, v13
	v_mov_b32_e32 v11, v6
	v_pk_mul_f32 v[10:11], v[10:11], 0.5 op_sel_hi:[1,0]
	s_waitcnt vmcnt(3)
	v_mov_b32_e32 v2, v21
	v_mov_b32_e32 v6, v11
	v_pk_mul_f32 v[6:7], v[2:3], v[6:7]
	v_mov_b32_e32 v13, v10
	v_mov_b32_e32 v15, v21
	v_pk_fma_f32 v[24:25], v[12:13], v[14:15], v[6:7]
	v_pk_fma_f32 v[6:7], v[12:13], v[14:15], v[6:7] neg_lo:[0,0,1] neg_hi:[0,0,1]
	v_pk_fma_f32 v[26:27], v[20:21], v[10:11], v[24:25]
	v_pk_fma_f32 v[24:25], v[20:21], v[10:11], v[24:25] op_sel_hi:[0,1,1] neg_lo:[1,0,0] neg_hi:[1,0,0]
	v_mov_b32_e32 v27, v25
	v_pk_fma_f32 v[6:7], v[20:21], v[10:11], v[6:7] op_sel_hi:[0,1,1] neg_lo:[1,0,0] neg_hi:[1,0,0]
	ds_write_b64 v160, v[26:27] offset:4032
	ds_write_b64 v8, v[6:7] offset:11648
	ds_read_b64 v[6:7], v162
	ds_read_b64 v[10:11], v8 offset:11200
	v_lshl_add_u64 v[14:15], v[88:89], 3, s[4:5]
	global_load_dwordx2 v[14:15], v[14:15], off
	v_mov_b32_e32 v20, v3
	s_waitcnt lgkmcnt(0)
	v_pk_add_f32 v[12:13], v[6:7], v[10:11]
	v_pk_add_f32 v[6:7], v[6:7], v[10:11] neg_lo:[0,1] neg_hi:[0,1]
	v_mov_b32_e32 v10, v13
	v_mov_b32_e32 v11, v6
	v_pk_mul_f32 v[10:11], v[10:11], 0.5 op_sel_hi:[1,0]
	s_waitcnt vmcnt(3)
	v_mov_b32_e32 v2, v23
	v_mov_b32_e32 v6, v11
	v_pk_mul_f32 v[6:7], v[2:3], v[6:7]
	v_mov_b32_e32 v13, v10
	v_mov_b32_e32 v21, v23
	v_pk_fma_f32 v[24:25], v[12:13], v[20:21], v[6:7]
	v_pk_fma_f32 v[6:7], v[12:13], v[20:21], v[6:7] neg_lo:[0,0,1] neg_hi:[0,0,1]
	v_pk_fma_f32 v[26:27], v[22:23], v[10:11], v[24:25]
	v_pk_fma_f32 v[24:25], v[22:23], v[10:11], v[24:25] op_sel_hi:[0,1,1] neg_lo:[1,0,0] neg_hi:[1,0,0]
	v_mov_b32_e32 v27, v25
	v_pk_fma_f32 v[6:7], v[22:23], v[10:11], v[6:7] op_sel_hi:[0,1,1] neg_lo:[1,0,0] neg_hi:[1,0,0]
	ds_write_b64 v162, v[26:27]
	ds_write_b64 v8, v[6:7] offset:11200
	ds_read_b64 v[6:7], v167
	ds_read_b64 v[10:11], v8 offset:10752
	v_lshl_add_u64 v[20:21], v[84:85], 3, s[4:5]
	global_load_dwordx2 v[20:21], v[20:21], off
	v_mov_b32_e32 v22, v3
	s_waitcnt lgkmcnt(0)
	v_pk_add_f32 v[12:13], v[6:7], v[10:11]
	v_pk_add_f32 v[6:7], v[6:7], v[10:11] neg_lo:[0,1] neg_hi:[0,1]
	v_mov_b32_e32 v10, v13
	v_mov_b32_e32 v11, v6
	v_pk_mul_f32 v[10:11], v[10:11], 0.5 op_sel_hi:[1,0]
	s_waitcnt vmcnt(3)
	v_mov_b32_e32 v2, v17
	v_mov_b32_e32 v6, v11
	v_pk_mul_f32 v[6:7], v[2:3], v[6:7]
	v_mov_b32_e32 v13, v10
	v_mov_b32_e32 v23, v17
	v_pk_fma_f32 v[24:25], v[12:13], v[22:23], v[6:7]
	v_pk_fma_f32 v[6:7], v[12:13], v[22:23], v[6:7] neg_lo:[0,0,1] neg_hi:[0,0,1]
	v_pk_fma_f32 v[26:27], v[16:17], v[10:11], v[24:25]
	v_pk_fma_f32 v[24:25], v[16:17], v[10:11], v[24:25] op_sel_hi:[0,1,1] neg_lo:[1,0,0] neg_hi:[1,0,0]
	v_mov_b32_e32 v27, v25
	v_pk_fma_f32 v[6:7], v[16:17], v[10:11], v[6:7] op_sel_hi:[0,1,1] neg_lo:[1,0,0] neg_hi:[1,0,0]
	ds_write_b64 v167, v[26:27]
	ds_write_b64 v8, v[6:7] offset:10752
	ds_read_b64 v[6:7], v93
	ds_read_b64 v[10:11], v8 offset:10304
	v_lshl_add_u64 v[16:17], v[74:75], 3, s[4:5]
	global_load_dwordx2 v[16:17], v[16:17], off
	s_waitcnt lgkmcnt(0)
	v_pk_add_f32 v[12:13], v[6:7], v[10:11]
	v_pk_add_f32 v[6:7], v[6:7], v[10:11] neg_lo:[0,1] neg_hi:[0,1]
	v_mov_b32_e32 v10, v13
	v_mov_b32_e32 v11, v6
	v_pk_mul_f32 v[10:11], v[10:11], 0.5 op_sel_hi:[1,0]
	s_waitcnt vmcnt(3)
	v_mov_b32_e32 v2, v19
	v_mov_b32_e32 v6, v11
	v_pk_mul_f32 v[6:7], v[2:3], v[6:7]
	v_mov_b32_e32 v13, v10
	v_mov_b32_e32 v23, v19
	v_pk_fma_f32 v[24:25], v[12:13], v[22:23], v[6:7]
	v_pk_fma_f32 v[6:7], v[12:13], v[22:23], v[6:7] neg_lo:[0,0,1] neg_hi:[0,0,1]
	v_pk_fma_f32 v[26:27], v[18:19], v[10:11], v[24:25]
	v_pk_fma_f32 v[24:25], v[18:19], v[10:11], v[24:25] op_sel_hi:[0,1,1] neg_lo:[1,0,0] neg_hi:[1,0,0]
	v_mov_b32_e32 v27, v25
	ds_write_b64 v93, v[26:27]
	v_pk_fma_f32 v[6:7], v[18:19], v[10:11], v[6:7] op_sel_hi:[0,1,1] neg_lo:[1,0,0] neg_hi:[1,0,0]
	v_mov_b32_e32 v93, v65
	ds_write_b64 v8, v[6:7] offset:10304
	v_lshl_add_u64 v[18:19], v[92:93], 3, s[4:5]
	ds_read_b64 v[6:7], v166
	ds_read_b64 v[10:11], v8 offset:9856
	global_load_dwordx2 v[18:19], v[18:19], off
	s_waitcnt lgkmcnt(0)
	v_pk_add_f32 v[12:13], v[6:7], v[10:11]
	v_pk_add_f32 v[6:7], v[6:7], v[10:11] neg_lo:[0,1] neg_hi:[0,1]
	v_mov_b32_e32 v10, v13
	v_mov_b32_e32 v11, v6
	v_pk_mul_f32 v[10:11], v[10:11], 0.5 op_sel_hi:[1,0]
	s_waitcnt vmcnt(3)
	v_mov_b32_e32 v2, v15
	v_mov_b32_e32 v6, v11
	v_pk_mul_f32 v[6:7], v[2:3], v[6:7]
	v_mov_b32_e32 v13, v10
	v_mov_b32_e32 v23, v15
	v_pk_fma_f32 v[24:25], v[12:13], v[22:23], v[6:7]
	v_pk_fma_f32 v[6:7], v[12:13], v[22:23], v[6:7] neg_lo:[0,0,1] neg_hi:[0,0,1]
	v_pk_fma_f32 v[26:27], v[14:15], v[10:11], v[24:25]
	v_pk_fma_f32 v[24:25], v[14:15], v[10:11], v[24:25] op_sel_hi:[0,1,1] neg_lo:[1,0,0] neg_hi:[1,0,0]
	v_mov_b32_e32 v27, v25
	v_pk_fma_f32 v[6:7], v[14:15], v[10:11], v[6:7] op_sel_hi:[0,1,1] neg_lo:[1,0,0] neg_hi:[1,0,0]
	ds_write_b64 v166, v[26:27]
	ds_write_b64 v8, v[6:7] offset:9856
	ds_read_b64 v[6:7], v165
	ds_read_b64 v[10:11], v8 offset:9408
	v_mov_b32_e32 v14, v3
	s_waitcnt lgkmcnt(0)
	v_pk_add_f32 v[12:13], v[6:7], v[10:11]
	v_pk_add_f32 v[6:7], v[6:7], v[10:11] neg_lo:[0,1] neg_hi:[0,1]
	v_mov_b32_e32 v10, v13
	v_mov_b32_e32 v11, v6
	v_pk_mul_f32 v[10:11], v[10:11], 0.5 op_sel_hi:[1,0]
	s_waitcnt vmcnt(2)
	v_mov_b32_e32 v2, v21
	v_mov_b32_e32 v6, v11
	v_pk_mul_f32 v[6:7], v[2:3], v[6:7]
	v_mov_b32_e32 v13, v10
	v_mov_b32_e32 v15, v21
	v_pk_fma_f32 v[22:23], v[12:13], v[14:15], v[6:7]
	v_pk_fma_f32 v[6:7], v[12:13], v[14:15], v[6:7] neg_lo:[0,0,1] neg_hi:[0,0,1]
	v_pk_fma_f32 v[24:25], v[20:21], v[10:11], v[22:23]
	v_pk_fma_f32 v[22:23], v[20:21], v[10:11], v[22:23] op_sel_hi:[0,1,1] neg_lo:[1,0,0] neg_hi:[1,0,0]
	v_mov_b32_e32 v25, v23
	v_pk_fma_f32 v[6:7], v[20:21], v[10:11], v[6:7] op_sel_hi:[0,1,1] neg_lo:[1,0,0] neg_hi:[1,0,0]
	ds_write_b64 v165, v[24:25]
	ds_write_b64 v8, v[6:7] offset:9408
	ds_read_b64 v[6:7], v161
	ds_read_b64 v[10:11], v8 offset:8960
	s_waitcnt lgkmcnt(0)
	v_pk_add_f32 v[12:13], v[6:7], v[10:11]
	v_pk_add_f32 v[6:7], v[6:7], v[10:11] neg_lo:[0,1] neg_hi:[0,1]
	v_mov_b32_e32 v10, v13
	v_mov_b32_e32 v11, v6
	v_pk_mul_f32 v[10:11], v[10:11], 0.5 op_sel_hi:[1,0]
	s_waitcnt vmcnt(1)
	v_mov_b32_e32 v2, v17
	v_mov_b32_e32 v6, v11
	v_pk_mul_f32 v[6:7], v[2:3], v[6:7]
	v_mov_b32_e32 v13, v10
	v_mov_b32_e32 v15, v17
	v_pk_fma_f32 v[20:21], v[12:13], v[14:15], v[6:7]
	v_pk_fma_f32 v[6:7], v[12:13], v[14:15], v[6:7] neg_lo:[0,0,1] neg_hi:[0,0,1]
	v_pk_fma_f32 v[22:23], v[16:17], v[10:11], v[20:21]
	v_pk_fma_f32 v[20:21], v[16:17], v[10:11], v[20:21] op_sel_hi:[0,1,1] neg_lo:[1,0,0] neg_hi:[1,0,0]
	v_mov_b32_e32 v23, v21
	v_pk_fma_f32 v[6:7], v[16:17], v[10:11], v[6:7] op_sel_hi:[0,1,1] neg_lo:[1,0,0] neg_hi:[1,0,0]
	ds_write_b64 v161, v[22:23]
	ds_write_b64 v8, v[6:7] offset:8960
	ds_read_b64 v[6:7], v160 offset:7168
	ds_read_b64 v[10:11], v8 offset:8512
	s_waitcnt lgkmcnt(0)
	v_pk_add_f32 v[12:13], v[6:7], v[10:11]
	v_pk_add_f32 v[6:7], v[6:7], v[10:11] neg_lo:[0,1] neg_hi:[0,1]
	v_mov_b32_e32 v10, v13
	v_mov_b32_e32 v11, v6
	v_pk_mul_f32 v[10:11], v[10:11], 0.5 op_sel_hi:[1,0]
	s_waitcnt vmcnt(0)
	v_mov_b32_e32 v2, v19
	v_mov_b32_e32 v6, v11
	v_pk_mul_f32 v[6:7], v[2:3], v[6:7]
	v_mov_b32_e32 v13, v10
	v_mov_b32_e32 v15, v19
	v_pk_fma_f32 v[16:17], v[12:13], v[14:15], v[6:7]
	v_pk_fma_f32 v[6:7], v[12:13], v[14:15], v[6:7] neg_lo:[0,0,1] neg_hi:[0,0,1]
	v_pk_fma_f32 v[20:21], v[18:19], v[10:11], v[16:17]
	v_pk_fma_f32 v[16:17], v[18:19], v[10:11], v[16:17] op_sel_hi:[0,1,1] neg_lo:[1,0,0] neg_hi:[1,0,0]
	v_mov_b32_e32 v21, v17
	v_pk_fma_f32 v[6:7], v[18:19], v[10:11], v[6:7] op_sel_hi:[0,1,1] neg_lo:[1,0,0] neg_hi:[1,0,0]
	ds_write_b64 v160, v[20:21] offset:7168
	ds_write_b64 v8, v[6:7] offset:8512
	s_and_saveexec_b64 s[2:3], vcc
	s_cbranch_execz .LBB0_25
; %bb.24:
	v_add_co_u32_e32 v4, vcc, 0x1000, v4
	v_mov_b32_e32 v12, v3
	s_nop 0
	v_addc_co_u32_e32 v5, vcc, 0, v5, vcc
	global_load_dwordx2 v[4:5], v[4:5], off offset:3520
	ds_read_b64 v[6:7], v160 offset:7616
	ds_read_b64 v[10:11], v8 offset:8064
	s_waitcnt lgkmcnt(0)
	v_pk_add_f32 v[14:15], v[6:7], v[10:11]
	v_pk_add_f32 v[6:7], v[6:7], v[10:11] neg_lo:[0,1] neg_hi:[0,1]
	v_mov_b32_e32 v10, v15
	v_mov_b32_e32 v11, v6
	v_pk_mul_f32 v[10:11], v[10:11], 0.5 op_sel_hi:[1,0]
	s_waitcnt vmcnt(0)
	v_mov_b32_e32 v2, v5
	v_mov_b32_e32 v6, v11
	;; [unrolled: 1-line block ×4, first 2 shown]
	v_pk_mul_f32 v[2:3], v[2:3], v[6:7]
	s_nop 0
	v_pk_fma_f32 v[6:7], v[14:15], v[12:13], v[2:3]
	v_pk_fma_f32 v[2:3], v[14:15], v[12:13], v[2:3] neg_lo:[0,0,1] neg_hi:[0,0,1]
	v_pk_fma_f32 v[12:13], v[4:5], v[10:11], v[6:7]
	v_pk_fma_f32 v[6:7], v[4:5], v[10:11], v[6:7] op_sel_hi:[0,1,1] neg_lo:[1,0,0] neg_hi:[1,0,0]
	v_mov_b32_e32 v13, v7
	v_pk_fma_f32 v[2:3], v[4:5], v[10:11], v[2:3] op_sel_hi:[0,1,1] neg_lo:[1,0,0] neg_hi:[1,0,0]
	ds_write_b64 v160, v[12:13] offset:7616
	ds_write_b64 v8, v[2:3] offset:8064
.LBB0_25:
	s_or_b64 exec, exec, s[2:3]
	s_waitcnt lgkmcnt(0)
	; wave barrier
	s_waitcnt lgkmcnt(0)
	s_and_saveexec_b64 s[2:3], s[0:1]
	s_cbranch_execz .LBB0_28
; %bb.26:
	ds_read2_b64 v[2:5], v160 offset1:56
	ds_read2_b64 v[6:9], v160 offset0:112 offset1:168
	v_lshl_add_u64 v[12:13], v[0:1], 3, v[62:63]
	v_add_u32_e32 v0, 0x400, v160
	v_add_u32_e32 v10, 0x800, v160
	s_movk_i32 s0, 0x1000
	s_waitcnt lgkmcnt(1)
	global_store_dwordx2 v[12:13], v[2:3], off
	global_store_dwordx2 v[12:13], v[4:5], off offset:448
	s_waitcnt lgkmcnt(0)
	global_store_dwordx2 v[12:13], v[6:7], off offset:896
	ds_read2_b64 v[0:3], v0 offset0:96 offset1:152
	ds_read2_b64 v[4:7], v10 offset0:80 offset1:136
	global_store_dwordx2 v[12:13], v[8:9], off offset:1344
	ds_read2_b64 v[8:11], v10 offset0:192 offset1:248
	v_add_co_u32_e32 v14, vcc, s0, v12
	s_waitcnt lgkmcnt(2)
	global_store_dwordx2 v[12:13], v[0:1], off offset:1792
	global_store_dwordx2 v[12:13], v[2:3], off offset:2240
	s_waitcnt lgkmcnt(1)
	global_store_dwordx2 v[12:13], v[4:5], off offset:2688
	global_store_dwordx2 v[12:13], v[6:7], off offset:3136
	;; [unrolled: 3-line block ×3, first 2 shown]
	v_add_u32_e32 v4, 0x1000, v160
	ds_read2_b64 v[0:3], v4 offset0:48 offset1:104
	ds_read2_b64 v[4:7], v4 offset0:160 offset1:216
	v_add_u32_e32 v16, 0x1800, v160
	v_addc_co_u32_e32 v15, vcc, 0, v13, vcc
	ds_read2_b64 v[8:11], v16 offset0:16 offset1:72
	s_waitcnt lgkmcnt(2)
	global_store_dwordx2 v[14:15], v[0:1], off offset:384
	global_store_dwordx2 v[14:15], v[2:3], off offset:832
	s_waitcnt lgkmcnt(1)
	global_store_dwordx2 v[14:15], v[4:5], off offset:1280
	global_store_dwordx2 v[14:15], v[6:7], off offset:1728
	s_waitcnt lgkmcnt(0)
	global_store_dwordx2 v[14:15], v[8:9], off offset:2176
	ds_read2_b64 v[0:3], v16 offset0:128 offset1:184
	v_add_u32_e32 v4, 0x1c00, v160
	ds_read2_b64 v[4:7], v4 offset0:112 offset1:168
	v_lshl_add_u64 v[8:9], v[92:93], 3, v[62:63]
	global_store_dwordx2 v[14:15], v[10:11], off offset:2624
	s_waitcnt lgkmcnt(1)
	global_store_dwordx2 v[8:9], v[0:1], off
	global_store_dwordx2 v[14:15], v[2:3], off offset:3520
	s_waitcnt lgkmcnt(0)
	global_store_dwordx2 v[14:15], v[4:5], off offset:3968
	v_add_u32_e32 v0, 0x2000, v160
	ds_read2_b64 v[0:3], v0 offset0:96 offset1:152
	s_movk_i32 s0, 0x2000
	v_add_u32_e32 v4, 0x2400, v160
	ds_read2_b64 v[8:11], v4 offset0:80 offset1:136
	v_add_co_u32_e32 v14, vcc, s0, v12
	s_movk_i32 s0, 0x3000
	s_nop 0
	v_addc_co_u32_e32 v15, vcc, 0, v13, vcc
	global_store_dwordx2 v[14:15], v[6:7], off offset:320
	s_waitcnt lgkmcnt(1)
	global_store_dwordx2 v[14:15], v[0:1], off offset:768
	global_store_dwordx2 v[14:15], v[2:3], off offset:1216
	s_waitcnt lgkmcnt(0)
	global_store_dwordx2 v[14:15], v[8:9], off offset:1664
	global_store_dwordx2 v[14:15], v[10:11], off offset:2112
	v_add_u32_e32 v1, 0x2800, v160
	ds_read2_b64 v[2:5], v1 offset0:64 offset1:120
	ds_read2_b64 v[6:9], v1 offset0:176 offset1:232
	v_or_b32_e32 v0, 0x540, v60
	v_mov_b32_e32 v1, 0
	v_lshl_add_u64 v[10:11], v[0:1], 3, v[62:63]
	s_waitcnt lgkmcnt(1)
	global_store_dwordx2 v[10:11], v[2:3], off
	global_store_dwordx2 v[14:15], v[4:5], off offset:3008
	s_waitcnt lgkmcnt(0)
	global_store_dwordx2 v[14:15], v[6:7], off offset:3456
	global_store_dwordx2 v[14:15], v[8:9], off offset:3904
	v_add_u32_e32 v0, 0x3000, v160
	ds_read2_b64 v[2:5], v0 offset0:32 offset1:88
	ds_read2_b64 v[6:9], v0 offset0:144 offset1:200
	v_add_co_u32_e32 v10, vcc, s0, v12
	v_add_u32_e32 v0, 0x3800, v160
	s_nop 0
	v_addc_co_u32_e32 v11, vcc, 0, v13, vcc
	s_waitcnt lgkmcnt(1)
	global_store_dwordx2 v[10:11], v[2:3], off offset:256
	global_store_dwordx2 v[10:11], v[4:5], off offset:704
	s_waitcnt lgkmcnt(0)
	global_store_dwordx2 v[10:11], v[6:7], off offset:1152
	ds_read2_b64 v[2:5], v0 offset1:56
	ds_read_b64 v[6:7], v160 offset:15232
	v_or_b32_e32 v0, 0x700, v60
	global_store_dwordx2 v[10:11], v[8:9], off offset:1600
	v_lshl_add_u64 v[8:9], v[0:1], 3, v[62:63]
	v_cmp_eq_u32_e32 vcc, 55, v60
	s_waitcnt lgkmcnt(1)
	global_store_dwordx2 v[8:9], v[2:3], off
	global_store_dwordx2 v[10:11], v[4:5], off offset:2496
	s_waitcnt lgkmcnt(0)
	global_store_dwordx2 v[10:11], v[6:7], off offset:2944
	s_and_b64 exec, exec, vcc
	s_cbranch_execz .LBB0_28
; %bb.27:
	ds_read_b64 v[0:1], v1 offset:15680
	v_add_co_u32_e32 v2, vcc, 0x3000, v62
	s_nop 1
	v_addc_co_u32_e32 v3, vcc, 0, v63, vcc
	s_waitcnt lgkmcnt(0)
	global_store_dwordx2 v[2:3], v[0:1], off offset:3392
.LBB0_28:
	s_endpgm
	.section	.rodata,"a",@progbits
	.p2align	6, 0x0
	.amdhsa_kernel fft_rtc_fwd_len1960_factors_4_7_2_7_5_wgs_56_tpt_56_halfLds_sp_ip_CI_unitstride_sbrr_R2C_dirReg
		.amdhsa_group_segment_fixed_size 0
		.amdhsa_private_segment_fixed_size 0
		.amdhsa_kernarg_size 88
		.amdhsa_user_sgpr_count 2
		.amdhsa_user_sgpr_dispatch_ptr 0
		.amdhsa_user_sgpr_queue_ptr 0
		.amdhsa_user_sgpr_kernarg_segment_ptr 1
		.amdhsa_user_sgpr_dispatch_id 0
		.amdhsa_user_sgpr_kernarg_preload_length 0
		.amdhsa_user_sgpr_kernarg_preload_offset 0
		.amdhsa_user_sgpr_private_segment_size 0
		.amdhsa_uses_dynamic_stack 0
		.amdhsa_enable_private_segment 0
		.amdhsa_system_sgpr_workgroup_id_x 1
		.amdhsa_system_sgpr_workgroup_id_y 0
		.amdhsa_system_sgpr_workgroup_id_z 0
		.amdhsa_system_sgpr_workgroup_info 0
		.amdhsa_system_vgpr_workitem_id 0
		.amdhsa_next_free_vgpr 202
		.amdhsa_next_free_sgpr 22
		.amdhsa_accum_offset 204
		.amdhsa_reserve_vcc 1
		.amdhsa_float_round_mode_32 0
		.amdhsa_float_round_mode_16_64 0
		.amdhsa_float_denorm_mode_32 3
		.amdhsa_float_denorm_mode_16_64 3
		.amdhsa_dx10_clamp 1
		.amdhsa_ieee_mode 1
		.amdhsa_fp16_overflow 0
		.amdhsa_tg_split 0
		.amdhsa_exception_fp_ieee_invalid_op 0
		.amdhsa_exception_fp_denorm_src 0
		.amdhsa_exception_fp_ieee_div_zero 0
		.amdhsa_exception_fp_ieee_overflow 0
		.amdhsa_exception_fp_ieee_underflow 0
		.amdhsa_exception_fp_ieee_inexact 0
		.amdhsa_exception_int_div_zero 0
	.end_amdhsa_kernel
	.text
.Lfunc_end0:
	.size	fft_rtc_fwd_len1960_factors_4_7_2_7_5_wgs_56_tpt_56_halfLds_sp_ip_CI_unitstride_sbrr_R2C_dirReg, .Lfunc_end0-fft_rtc_fwd_len1960_factors_4_7_2_7_5_wgs_56_tpt_56_halfLds_sp_ip_CI_unitstride_sbrr_R2C_dirReg
                                        ; -- End function
	.section	.AMDGPU.csdata,"",@progbits
; Kernel info:
; codeLenInByte = 21732
; NumSgprs: 28
; NumVgprs: 202
; NumAgprs: 0
; TotalNumVgprs: 202
; ScratchSize: 0
; MemoryBound: 0
; FloatMode: 240
; IeeeMode: 1
; LDSByteSize: 0 bytes/workgroup (compile time only)
; SGPRBlocks: 3
; VGPRBlocks: 25
; NumSGPRsForWavesPerEU: 28
; NumVGPRsForWavesPerEU: 202
; AccumOffset: 204
; Occupancy: 2
; WaveLimiterHint : 1
; COMPUTE_PGM_RSRC2:SCRATCH_EN: 0
; COMPUTE_PGM_RSRC2:USER_SGPR: 2
; COMPUTE_PGM_RSRC2:TRAP_HANDLER: 0
; COMPUTE_PGM_RSRC2:TGID_X_EN: 1
; COMPUTE_PGM_RSRC2:TGID_Y_EN: 0
; COMPUTE_PGM_RSRC2:TGID_Z_EN: 0
; COMPUTE_PGM_RSRC2:TIDIG_COMP_CNT: 0
; COMPUTE_PGM_RSRC3_GFX90A:ACCUM_OFFSET: 50
; COMPUTE_PGM_RSRC3_GFX90A:TG_SPLIT: 0
	.text
	.p2alignl 6, 3212836864
	.fill 256, 4, 3212836864
	.type	__hip_cuid_ed997387ea1eb810,@object ; @__hip_cuid_ed997387ea1eb810
	.section	.bss,"aw",@nobits
	.globl	__hip_cuid_ed997387ea1eb810
__hip_cuid_ed997387ea1eb810:
	.byte	0                               ; 0x0
	.size	__hip_cuid_ed997387ea1eb810, 1

	.ident	"AMD clang version 19.0.0git (https://github.com/RadeonOpenCompute/llvm-project roc-6.4.0 25133 c7fe45cf4b819c5991fe208aaa96edf142730f1d)"
	.section	".note.GNU-stack","",@progbits
	.addrsig
	.addrsig_sym __hip_cuid_ed997387ea1eb810
	.amdgpu_metadata
---
amdhsa.kernels:
  - .agpr_count:     0
    .args:
      - .actual_access:  read_only
        .address_space:  global
        .offset:         0
        .size:           8
        .value_kind:     global_buffer
      - .offset:         8
        .size:           8
        .value_kind:     by_value
      - .actual_access:  read_only
        .address_space:  global
        .offset:         16
        .size:           8
        .value_kind:     global_buffer
      - .actual_access:  read_only
        .address_space:  global
        .offset:         24
        .size:           8
        .value_kind:     global_buffer
      - .offset:         32
        .size:           8
        .value_kind:     by_value
      - .actual_access:  read_only
        .address_space:  global
        .offset:         40
        .size:           8
        .value_kind:     global_buffer
      - .actual_access:  read_only
        .address_space:  global
        .offset:         48
        .size:           8
        .value_kind:     global_buffer
      - .offset:         56
        .size:           4
        .value_kind:     by_value
      - .actual_access:  read_only
        .address_space:  global
        .offset:         64
        .size:           8
        .value_kind:     global_buffer
      - .actual_access:  read_only
        .address_space:  global
        .offset:         72
        .size:           8
        .value_kind:     global_buffer
      - .address_space:  global
        .offset:         80
        .size:           8
        .value_kind:     global_buffer
    .group_segment_fixed_size: 0
    .kernarg_segment_align: 8
    .kernarg_segment_size: 88
    .language:       OpenCL C
    .language_version:
      - 2
      - 0
    .max_flat_workgroup_size: 56
    .name:           fft_rtc_fwd_len1960_factors_4_7_2_7_5_wgs_56_tpt_56_halfLds_sp_ip_CI_unitstride_sbrr_R2C_dirReg
    .private_segment_fixed_size: 0
    .sgpr_count:     28
    .sgpr_spill_count: 0
    .symbol:         fft_rtc_fwd_len1960_factors_4_7_2_7_5_wgs_56_tpt_56_halfLds_sp_ip_CI_unitstride_sbrr_R2C_dirReg.kd
    .uniform_work_group_size: 1
    .uses_dynamic_stack: false
    .vgpr_count:     202
    .vgpr_spill_count: 0
    .wavefront_size: 64
amdhsa.target:   amdgcn-amd-amdhsa--gfx950
amdhsa.version:
  - 1
  - 2
...

	.end_amdgpu_metadata
